;; amdgpu-corpus repo=ROCm/rocFFT kind=compiled arch=gfx906 opt=O3
	.text
	.amdgcn_target "amdgcn-amd-amdhsa--gfx906"
	.amdhsa_code_object_version 6
	.protected	fft_rtc_fwd_len1440_factors_10_16_3_3_wgs_90_tpt_90_halfLds_dp_ip_CI_unitstride_sbrr_C2R_dirReg ; -- Begin function fft_rtc_fwd_len1440_factors_10_16_3_3_wgs_90_tpt_90_halfLds_dp_ip_CI_unitstride_sbrr_C2R_dirReg
	.globl	fft_rtc_fwd_len1440_factors_10_16_3_3_wgs_90_tpt_90_halfLds_dp_ip_CI_unitstride_sbrr_C2R_dirReg
	.p2align	8
	.type	fft_rtc_fwd_len1440_factors_10_16_3_3_wgs_90_tpt_90_halfLds_dp_ip_CI_unitstride_sbrr_C2R_dirReg,@function
fft_rtc_fwd_len1440_factors_10_16_3_3_wgs_90_tpt_90_halfLds_dp_ip_CI_unitstride_sbrr_C2R_dirReg: ; @fft_rtc_fwd_len1440_factors_10_16_3_3_wgs_90_tpt_90_halfLds_dp_ip_CI_unitstride_sbrr_C2R_dirReg
; %bb.0:
	s_load_dwordx2 s[12:13], s[4:5], 0x50
	s_load_dwordx4 s[8:11], s[4:5], 0x0
	s_load_dwordx2 s[2:3], s[4:5], 0x18
	v_mul_u32_u24_e32 v1, 0x2d9, v0
	v_add_u32_sdwa v5, s6, v1 dst_sel:DWORD dst_unused:UNUSED_PAD src0_sel:DWORD src1_sel:WORD_1
	v_mov_b32_e32 v3, 0
	s_waitcnt lgkmcnt(0)
	v_cmp_lt_u64_e64 s[0:1], s[10:11], 2
	v_mov_b32_e32 v1, 0
	v_mov_b32_e32 v6, v3
	s_and_b64 vcc, exec, s[0:1]
	v_mov_b32_e32 v2, 0
	s_cbranch_vccnz .LBB0_8
; %bb.1:
	s_load_dwordx2 s[0:1], s[4:5], 0x10
	s_add_u32 s6, s2, 8
	s_addc_u32 s7, s3, 0
	v_mov_b32_e32 v1, 0
	v_mov_b32_e32 v2, 0
	s_waitcnt lgkmcnt(0)
	s_add_u32 s14, s0, 8
	s_addc_u32 s15, s1, 0
	s_mov_b64 s[16:17], 1
.LBB0_2:                                ; =>This Inner Loop Header: Depth=1
	s_load_dwordx2 s[18:19], s[14:15], 0x0
                                        ; implicit-def: $vgpr7_vgpr8
	s_waitcnt lgkmcnt(0)
	v_or_b32_e32 v4, s19, v6
	v_cmp_ne_u64_e32 vcc, 0, v[3:4]
	s_and_saveexec_b64 s[0:1], vcc
	s_xor_b64 s[20:21], exec, s[0:1]
	s_cbranch_execz .LBB0_4
; %bb.3:                                ;   in Loop: Header=BB0_2 Depth=1
	v_cvt_f32_u32_e32 v4, s18
	v_cvt_f32_u32_e32 v7, s19
	s_sub_u32 s0, 0, s18
	s_subb_u32 s1, 0, s19
	v_mac_f32_e32 v4, 0x4f800000, v7
	v_rcp_f32_e32 v4, v4
	v_mul_f32_e32 v4, 0x5f7ffffc, v4
	v_mul_f32_e32 v7, 0x2f800000, v4
	v_trunc_f32_e32 v7, v7
	v_mac_f32_e32 v4, 0xcf800000, v7
	v_cvt_u32_f32_e32 v7, v7
	v_cvt_u32_f32_e32 v4, v4
	v_mul_lo_u32 v8, s0, v7
	v_mul_hi_u32 v9, s0, v4
	v_mul_lo_u32 v11, s1, v4
	v_mul_lo_u32 v10, s0, v4
	v_add_u32_e32 v8, v9, v8
	v_add_u32_e32 v8, v8, v11
	v_mul_hi_u32 v9, v4, v10
	v_mul_lo_u32 v11, v4, v8
	v_mul_hi_u32 v13, v4, v8
	v_mul_hi_u32 v12, v7, v10
	v_mul_lo_u32 v10, v7, v10
	v_mul_hi_u32 v14, v7, v8
	v_add_co_u32_e32 v9, vcc, v9, v11
	v_addc_co_u32_e32 v11, vcc, 0, v13, vcc
	v_mul_lo_u32 v8, v7, v8
	v_add_co_u32_e32 v9, vcc, v9, v10
	v_addc_co_u32_e32 v9, vcc, v11, v12, vcc
	v_addc_co_u32_e32 v10, vcc, 0, v14, vcc
	v_add_co_u32_e32 v8, vcc, v9, v8
	v_addc_co_u32_e32 v9, vcc, 0, v10, vcc
	v_add_co_u32_e32 v4, vcc, v4, v8
	v_addc_co_u32_e32 v7, vcc, v7, v9, vcc
	v_mul_lo_u32 v8, s0, v7
	v_mul_hi_u32 v9, s0, v4
	v_mul_lo_u32 v10, s1, v4
	v_mul_lo_u32 v11, s0, v4
	v_add_u32_e32 v8, v9, v8
	v_add_u32_e32 v8, v8, v10
	v_mul_lo_u32 v12, v4, v8
	v_mul_hi_u32 v13, v4, v11
	v_mul_hi_u32 v14, v4, v8
	;; [unrolled: 1-line block ×3, first 2 shown]
	v_mul_lo_u32 v11, v7, v11
	v_mul_hi_u32 v9, v7, v8
	v_add_co_u32_e32 v12, vcc, v13, v12
	v_addc_co_u32_e32 v13, vcc, 0, v14, vcc
	v_mul_lo_u32 v8, v7, v8
	v_add_co_u32_e32 v11, vcc, v12, v11
	v_addc_co_u32_e32 v10, vcc, v13, v10, vcc
	v_addc_co_u32_e32 v9, vcc, 0, v9, vcc
	v_add_co_u32_e32 v8, vcc, v10, v8
	v_addc_co_u32_e32 v9, vcc, 0, v9, vcc
	v_add_co_u32_e32 v4, vcc, v4, v8
	v_addc_co_u32_e32 v9, vcc, v7, v9, vcc
	v_mad_u64_u32 v[7:8], s[0:1], v5, v9, 0
	v_mul_hi_u32 v10, v5, v4
	v_add_co_u32_e32 v11, vcc, v10, v7
	v_addc_co_u32_e32 v12, vcc, 0, v8, vcc
	v_mad_u64_u32 v[7:8], s[0:1], v6, v4, 0
	v_mad_u64_u32 v[9:10], s[0:1], v6, v9, 0
	v_add_co_u32_e32 v4, vcc, v11, v7
	v_addc_co_u32_e32 v4, vcc, v12, v8, vcc
	v_addc_co_u32_e32 v7, vcc, 0, v10, vcc
	v_add_co_u32_e32 v4, vcc, v4, v9
	v_addc_co_u32_e32 v9, vcc, 0, v7, vcc
	v_mul_lo_u32 v10, s19, v4
	v_mul_lo_u32 v11, s18, v9
	v_mad_u64_u32 v[7:8], s[0:1], s18, v4, 0
	v_add3_u32 v8, v8, v11, v10
	v_sub_u32_e32 v10, v6, v8
	v_mov_b32_e32 v11, s19
	v_sub_co_u32_e32 v7, vcc, v5, v7
	v_subb_co_u32_e64 v10, s[0:1], v10, v11, vcc
	v_subrev_co_u32_e64 v11, s[0:1], s18, v7
	v_subbrev_co_u32_e64 v10, s[0:1], 0, v10, s[0:1]
	v_cmp_le_u32_e64 s[0:1], s19, v10
	v_cndmask_b32_e64 v12, 0, -1, s[0:1]
	v_cmp_le_u32_e64 s[0:1], s18, v11
	v_cndmask_b32_e64 v11, 0, -1, s[0:1]
	v_cmp_eq_u32_e64 s[0:1], s19, v10
	v_cndmask_b32_e64 v10, v12, v11, s[0:1]
	v_add_co_u32_e64 v11, s[0:1], 2, v4
	v_addc_co_u32_e64 v12, s[0:1], 0, v9, s[0:1]
	v_add_co_u32_e64 v13, s[0:1], 1, v4
	v_addc_co_u32_e64 v14, s[0:1], 0, v9, s[0:1]
	v_subb_co_u32_e32 v8, vcc, v6, v8, vcc
	v_cmp_ne_u32_e64 s[0:1], 0, v10
	v_cmp_le_u32_e32 vcc, s19, v8
	v_cndmask_b32_e64 v10, v14, v12, s[0:1]
	v_cndmask_b32_e64 v12, 0, -1, vcc
	v_cmp_le_u32_e32 vcc, s18, v7
	v_cndmask_b32_e64 v7, 0, -1, vcc
	v_cmp_eq_u32_e32 vcc, s19, v8
	v_cndmask_b32_e32 v7, v12, v7, vcc
	v_cmp_ne_u32_e32 vcc, 0, v7
	v_cndmask_b32_e64 v7, v13, v11, s[0:1]
	v_cndmask_b32_e32 v8, v9, v10, vcc
	v_cndmask_b32_e32 v7, v4, v7, vcc
.LBB0_4:                                ;   in Loop: Header=BB0_2 Depth=1
	s_andn2_saveexec_b64 s[0:1], s[20:21]
	s_cbranch_execz .LBB0_6
; %bb.5:                                ;   in Loop: Header=BB0_2 Depth=1
	v_cvt_f32_u32_e32 v4, s18
	s_sub_i32 s20, 0, s18
	v_rcp_iflag_f32_e32 v4, v4
	v_mul_f32_e32 v4, 0x4f7ffffe, v4
	v_cvt_u32_f32_e32 v4, v4
	v_mul_lo_u32 v7, s20, v4
	v_mul_hi_u32 v7, v4, v7
	v_add_u32_e32 v4, v4, v7
	v_mul_hi_u32 v4, v5, v4
	v_mul_lo_u32 v7, v4, s18
	v_add_u32_e32 v8, 1, v4
	v_sub_u32_e32 v7, v5, v7
	v_subrev_u32_e32 v9, s18, v7
	v_cmp_le_u32_e32 vcc, s18, v7
	v_cndmask_b32_e32 v7, v7, v9, vcc
	v_cndmask_b32_e32 v4, v4, v8, vcc
	v_add_u32_e32 v8, 1, v4
	v_cmp_le_u32_e32 vcc, s18, v7
	v_cndmask_b32_e32 v7, v4, v8, vcc
	v_mov_b32_e32 v8, v3
.LBB0_6:                                ;   in Loop: Header=BB0_2 Depth=1
	s_or_b64 exec, exec, s[0:1]
	v_mul_lo_u32 v4, v8, s18
	v_mul_lo_u32 v11, v7, s19
	v_mad_u64_u32 v[9:10], s[0:1], v7, s18, 0
	s_load_dwordx2 s[0:1], s[6:7], 0x0
	s_add_u32 s16, s16, 1
	v_add3_u32 v4, v10, v11, v4
	v_sub_co_u32_e32 v5, vcc, v5, v9
	v_subb_co_u32_e32 v4, vcc, v6, v4, vcc
	s_waitcnt lgkmcnt(0)
	v_mul_lo_u32 v4, s0, v4
	v_mul_lo_u32 v6, s1, v5
	v_mad_u64_u32 v[1:2], s[0:1], s0, v5, v[1:2]
	s_addc_u32 s17, s17, 0
	s_add_u32 s6, s6, 8
	v_add3_u32 v2, v6, v2, v4
	v_mov_b32_e32 v4, s10
	v_mov_b32_e32 v5, s11
	s_addc_u32 s7, s7, 0
	v_cmp_ge_u64_e32 vcc, s[16:17], v[4:5]
	s_add_u32 s14, s14, 8
	s_addc_u32 s15, s15, 0
	s_cbranch_vccnz .LBB0_9
; %bb.7:                                ;   in Loop: Header=BB0_2 Depth=1
	v_mov_b32_e32 v5, v7
	v_mov_b32_e32 v6, v8
	s_branch .LBB0_2
.LBB0_8:
	v_mov_b32_e32 v8, v6
	v_mov_b32_e32 v7, v5
.LBB0_9:
	s_lshl_b64 s[0:1], s[10:11], 3
	s_add_u32 s0, s2, s0
	s_addc_u32 s1, s3, s1
	s_load_dwordx2 s[2:3], s[0:1], 0x0
	s_load_dwordx2 s[6:7], s[4:5], 0x20
	s_waitcnt lgkmcnt(0)
	v_mad_u64_u32 v[1:2], s[0:1], s2, v7, v[1:2]
	v_mul_lo_u32 v3, s2, v8
	v_mul_lo_u32 v4, s3, v7
	s_mov_b32 s0, 0x2d82d83
	v_mul_hi_u32 v5, v0, s0
	v_cmp_gt_u64_e64 s[0:1], s[6:7], v[7:8]
	v_add3_u32 v2, v4, v2, v3
	v_lshlrev_b64 v[74:75], 4, v[1:2]
	v_mul_u32_u24_e32 v3, 0x5a, v5
	v_sub_u32_e32 v72, v0, v3
	s_and_saveexec_b64 s[2:3], s[0:1]
	s_cbranch_execz .LBB0_13
; %bb.10:
	v_mov_b32_e32 v73, 0
	v_mov_b32_e32 v0, s13
	v_add_co_u32_e32 v1, vcc, s12, v74
	v_lshlrev_b64 v[2:3], 4, v[72:73]
	v_addc_co_u32_e32 v0, vcc, v0, v75, vcc
	v_add_co_u32_e32 v42, vcc, v1, v2
	v_addc_co_u32_e32 v43, vcc, v0, v3, vcc
	s_movk_i32 s4, 0x1000
	v_add_co_u32_e32 v26, vcc, s4, v42
	v_addc_co_u32_e32 v27, vcc, 0, v43, vcc
	s_movk_i32 s4, 0x2000
	;; [unrolled: 3-line block ×4, first 2 shown]
	v_add_co_u32_e32 v68, vcc, s4, v42
	v_addc_co_u32_e32 v69, vcc, 0, v43, vcc
	v_add_co_u32_e32 v70, vcc, 0x5000, v42
	global_load_dwordx4 v[2:5], v[42:43], off
	global_load_dwordx4 v[6:9], v[42:43], off offset:1440
	global_load_dwordx4 v[10:13], v[42:43], off offset:2880
	;; [unrolled: 1-line block ×5, first 2 shown]
	s_nop 0
	global_load_dwordx4 v[26:29], v[44:45], off offset:448
	global_load_dwordx4 v[30:33], v[44:45], off offset:1888
	;; [unrolled: 1-line block ×4, first 2 shown]
	v_addc_co_u32_e32 v71, vcc, 0, v43, vcc
	global_load_dwordx4 v[42:45], v[66:67], off offset:2112
	global_load_dwordx4 v[46:49], v[66:67], off offset:3552
	global_load_dwordx4 v[50:53], v[68:69], off offset:896
	global_load_dwordx4 v[54:57], v[68:69], off offset:2336
	global_load_dwordx4 v[58:61], v[68:69], off offset:3776
	global_load_dwordx4 v[62:65], v[70:71], off offset:1120
	s_movk_i32 s4, 0x59
	v_lshl_add_u32 v66, v72, 4, 0
	v_cmp_eq_u32_e32 vcc, s4, v72
	s_waitcnt vmcnt(15)
	ds_write_b128 v66, v[2:5]
	s_waitcnt vmcnt(14)
	ds_write_b128 v66, v[6:9] offset:1440
	s_waitcnt vmcnt(13)
	ds_write_b128 v66, v[10:13] offset:2880
	;; [unrolled: 2-line block ×15, first 2 shown]
	s_and_saveexec_b64 s[4:5], vcc
	s_cbranch_execz .LBB0_12
; %bb.11:
	v_add_co_u32_e32 v1, vcc, 0x5000, v1
	v_addc_co_u32_e32 v2, vcc, 0, v0, vcc
	global_load_dwordx4 v[0:3], v[1:2], off offset:2560
	v_mov_b32_e32 v72, 0x59
	s_waitcnt vmcnt(0)
	ds_write_b128 v73, v[0:3] offset:23040
.LBB0_12:
	s_or_b64 exec, exec, s[4:5]
.LBB0_13:
	s_or_b64 exec, exec, s[2:3]
	v_lshlrev_b32_e32 v0, 4, v72
	v_add_u32_e32 v116, 0, v0
	s_waitcnt lgkmcnt(0)
	s_barrier
	v_sub_u32_e32 v12, 0, v0
	ds_read_b64 v[6:7], v116
	ds_read_b64 v[8:9], v12 offset:23040
	s_add_u32 s4, s8, 0x5960
	s_addc_u32 s5, s9, 0
	v_cmp_ne_u32_e32 vcc, 0, v72
                                        ; implicit-def: $vgpr4_vgpr5
	s_waitcnt lgkmcnt(0)
	v_add_f64 v[0:1], v[6:7], v[8:9]
	v_add_f64 v[2:3], v[6:7], -v[8:9]
	s_and_saveexec_b64 s[2:3], vcc
	s_xor_b64 s[2:3], exec, s[2:3]
	s_cbranch_execz .LBB0_15
; %bb.14:
	v_mov_b32_e32 v73, 0
	v_lshlrev_b64 v[0:1], 4, v[72:73]
	v_mov_b32_e32 v2, s5
	v_add_co_u32_e32 v0, vcc, s4, v0
	v_addc_co_u32_e32 v1, vcc, v2, v1, vcc
	global_load_dwordx4 v[2:5], v[0:1], off
	ds_read_b64 v[0:1], v12 offset:23048
	ds_read_b64 v[10:11], v116 offset:8
	v_add_f64 v[13:14], v[6:7], v[8:9]
	v_add_f64 v[8:9], v[6:7], -v[8:9]
	s_waitcnt lgkmcnt(0)
	v_add_f64 v[15:16], v[0:1], v[10:11]
	v_add_f64 v[0:1], v[10:11], -v[0:1]
	s_waitcnt vmcnt(0)
	v_fma_f64 v[6:7], -v[8:9], v[4:5], v[13:14]
	v_fma_f64 v[10:11], v[15:16], v[4:5], -v[0:1]
	v_fma_f64 v[13:14], v[8:9], v[4:5], v[13:14]
	v_fma_f64 v[17:18], v[15:16], v[4:5], v[0:1]
	;; [unrolled: 1-line block ×4, first 2 shown]
	v_fma_f64 v[0:1], -v[15:16], v[2:3], v[13:14]
	v_fma_f64 v[2:3], v[8:9], v[2:3], v[17:18]
	ds_write_b128 v12, v[4:7] offset:23040
	v_mov_b32_e32 v4, v72
	v_mov_b32_e32 v5, v73
.LBB0_15:
	s_andn2_saveexec_b64 s[2:3], s[2:3]
	s_cbranch_execz .LBB0_17
; %bb.16:
	v_mov_b32_e32 v13, 0
	ds_read_b128 v[4:7], v13 offset:11520
	s_waitcnt lgkmcnt(0)
	v_add_f64 v[8:9], v[4:5], v[4:5]
	v_mul_f64 v[10:11], v[6:7], -2.0
	v_mov_b32_e32 v4, 0
	v_mov_b32_e32 v5, 0
	ds_write_b128 v13, v[8:11] offset:11520
.LBB0_17:
	s_or_b64 exec, exec, s[2:3]
	v_lshlrev_b64 v[4:5], 4, v[4:5]
	v_mov_b32_e32 v6, s5
	v_add_co_u32_e32 v21, vcc, s4, v4
	v_addc_co_u32_e32 v22, vcc, v6, v5, vcc
	global_load_dwordx4 v[4:7], v[21:22], off offset:1440
	global_load_dwordx4 v[8:11], v[21:22], off offset:2880
	s_movk_i32 s2, 0x1000
	v_add_co_u32_e32 v23, vcc, s2, v21
	ds_write_b128 v116, v[0:3]
	v_addc_co_u32_e32 v24, vcc, 0, v22, vcc
	ds_read_b128 v[0:3], v116 offset:1440
	ds_read_b128 v[13:16], v12 offset:21600
	global_load_dwordx4 v[17:20], v[23:24], off offset:224
	s_movk_i32 s2, 0x2000
	v_add_co_u32_e32 v21, vcc, s2, v21
	s_waitcnt lgkmcnt(0)
	v_add_f64 v[25:26], v[0:1], v[13:14]
	v_add_f64 v[27:28], v[15:16], v[2:3]
	v_add_f64 v[29:30], v[0:1], -v[13:14]
	v_add_f64 v[0:1], v[2:3], -v[15:16]
	v_addc_co_u32_e32 v22, vcc, 0, v22, vcc
	s_movk_i32 s10, 0x90
	s_mov_b32 s2, 0x134454ff
	s_mov_b32 s3, 0x3fee6f0e
	;; [unrolled: 1-line block ×3, first 2 shown]
	v_mad_u32_u24 v73, v72, s10, v116
	s_mov_b32 s10, s2
	s_mov_b32 s6, 0x4755a5e
	;; [unrolled: 1-line block ×9, first 2 shown]
	v_cmp_gt_u32_e32 vcc, 54, v72
	s_waitcnt vmcnt(2)
	v_fma_f64 v[2:3], v[29:30], v[6:7], v[25:26]
	v_fma_f64 v[13:14], v[27:28], v[6:7], v[0:1]
	v_fma_f64 v[15:16], -v[29:30], v[6:7], v[25:26]
	v_fma_f64 v[6:7], v[27:28], v[6:7], -v[0:1]
	v_fma_f64 v[0:1], -v[27:28], v[4:5], v[2:3]
	v_fma_f64 v[2:3], v[29:30], v[4:5], v[13:14]
	v_fma_f64 v[13:14], v[27:28], v[4:5], v[15:16]
	v_fma_f64 v[15:16], v[29:30], v[4:5], v[6:7]
	ds_write_b128 v116, v[0:3] offset:1440
	ds_write_b128 v12, v[13:16] offset:21600
	ds_read_b128 v[0:3], v116 offset:2880
	ds_read_b128 v[4:7], v12 offset:20160
	global_load_dwordx4 v[13:16], v[23:24], off offset:1664
	s_waitcnt lgkmcnt(0)
	v_add_f64 v[25:26], v[0:1], v[4:5]
	v_add_f64 v[27:28], v[6:7], v[2:3]
	v_add_f64 v[29:30], v[0:1], -v[4:5]
	v_add_f64 v[0:1], v[2:3], -v[6:7]
	s_waitcnt vmcnt(2)
	v_fma_f64 v[2:3], v[29:30], v[10:11], v[25:26]
	v_fma_f64 v[4:5], v[27:28], v[10:11], v[0:1]
	v_fma_f64 v[6:7], -v[29:30], v[10:11], v[25:26]
	v_fma_f64 v[10:11], v[27:28], v[10:11], -v[0:1]
	v_fma_f64 v[0:1], -v[27:28], v[8:9], v[2:3]
	v_fma_f64 v[2:3], v[29:30], v[8:9], v[4:5]
	v_fma_f64 v[4:5], v[27:28], v[8:9], v[6:7]
	v_fma_f64 v[6:7], v[29:30], v[8:9], v[10:11]
	ds_write_b128 v116, v[0:3] offset:2880
	ds_write_b128 v12, v[4:7] offset:20160
	ds_read_b128 v[0:3], v116 offset:4320
	ds_read_b128 v[4:7], v12 offset:18720
	global_load_dwordx4 v[8:11], v[23:24], off offset:3104
	s_waitcnt lgkmcnt(0)
	v_add_f64 v[23:24], v[0:1], v[4:5]
	v_add_f64 v[25:26], v[6:7], v[2:3]
	v_add_f64 v[27:28], v[0:1], -v[4:5]
	v_add_f64 v[0:1], v[2:3], -v[6:7]
	;; [unrolled: 19-line block ×4, first 2 shown]
	s_waitcnt vmcnt(2)
	v_fma_f64 v[6:7], v[25:26], v[10:11], v[21:22]
	v_fma_f64 v[13:14], v[23:24], v[10:11], v[4:5]
	v_fma_f64 v[15:16], -v[25:26], v[10:11], v[21:22]
	v_fma_f64 v[10:11], v[23:24], v[10:11], -v[4:5]
	v_fma_f64 v[4:5], -v[23:24], v[8:9], v[6:7]
	v_fma_f64 v[6:7], v[25:26], v[8:9], v[13:14]
	v_fma_f64 v[13:14], v[23:24], v[8:9], v[15:16]
	;; [unrolled: 1-line block ×3, first 2 shown]
	ds_write_b128 v116, v[4:7] offset:7200
	ds_write_b128 v12, v[13:16] offset:15840
	ds_read_b128 v[4:7], v116 offset:8640
	ds_read_b128 v[8:11], v12 offset:14400
	s_waitcnt lgkmcnt(0)
	v_add_f64 v[13:14], v[4:5], v[8:9]
	v_add_f64 v[15:16], v[10:11], v[6:7]
	v_add_f64 v[21:22], v[4:5], -v[8:9]
	v_add_f64 v[4:5], v[6:7], -v[10:11]
	s_waitcnt vmcnt(1)
	v_fma_f64 v[6:7], v[21:22], v[19:20], v[13:14]
	v_fma_f64 v[8:9], v[15:16], v[19:20], v[4:5]
	v_fma_f64 v[10:11], -v[21:22], v[19:20], v[13:14]
	v_fma_f64 v[13:14], v[15:16], v[19:20], -v[4:5]
	v_fma_f64 v[4:5], -v[15:16], v[17:18], v[6:7]
	v_fma_f64 v[6:7], v[21:22], v[17:18], v[8:9]
	v_fma_f64 v[8:9], v[15:16], v[17:18], v[10:11]
	;; [unrolled: 1-line block ×3, first 2 shown]
	ds_write_b128 v116, v[4:7] offset:8640
	ds_write_b128 v12, v[8:11] offset:14400
	ds_read_b128 v[13:16], v116 offset:10080
	ds_read_b128 v[17:20], v12 offset:12960
	s_waitcnt lgkmcnt(0)
	v_add_f64 v[8:9], v[13:14], v[17:18]
	v_add_f64 v[4:5], v[19:20], v[15:16]
	v_add_f64 v[6:7], v[13:14], -v[17:18]
	v_add_f64 v[10:11], v[15:16], -v[19:20]
	s_waitcnt vmcnt(0)
	v_fma_f64 v[13:14], v[6:7], v[2:3], v[8:9]
	v_fma_f64 v[15:16], v[4:5], v[2:3], v[10:11]
	v_fma_f64 v[17:18], -v[6:7], v[2:3], v[8:9]
	v_fma_f64 v[19:20], v[4:5], v[2:3], -v[10:11]
	v_fma_f64 v[8:9], -v[4:5], v[0:1], v[13:14]
	v_fma_f64 v[10:11], v[6:7], v[0:1], v[15:16]
	v_fma_f64 v[2:3], v[4:5], v[0:1], v[17:18]
	;; [unrolled: 1-line block ×3, first 2 shown]
	ds_write_b128 v116, v[8:11] offset:10080
	ds_write_b128 v12, v[2:5] offset:12960
	s_waitcnt lgkmcnt(0)
	s_barrier
	s_barrier
	ds_read_b128 v[0:3], v116
	ds_read_b128 v[20:23], v116 offset:1440
	ds_read_b128 v[4:7], v116 offset:4608
	ds_read_b128 v[24:27], v116 offset:6048
	ds_read_b128 v[48:51], v116 offset:9216
	ds_read_b128 v[16:19], v116 offset:10656
	ds_read_b128 v[52:55], v116 offset:13824
	ds_read_b128 v[12:15], v116 offset:15264
	ds_read_b128 v[56:59], v116 offset:18432
	ds_read_b128 v[8:11], v116 offset:19872
	ds_read_b128 v[60:63], v116 offset:2304
	ds_read_b128 v[32:35], v116 offset:3744
	ds_read_b128 v[64:67], v116 offset:6912
	ds_read_b128 v[36:39], v116 offset:8352
	ds_read_b128 v[68:71], v116 offset:11520
	ds_read_b128 v[28:31], v116 offset:12960
	ds_read_b128 v[76:79], v116 offset:16128
	ds_read_b128 v[44:47], v116 offset:17568
	ds_read_b128 v[80:83], v116 offset:20736
	ds_read_b128 v[40:43], v116 offset:22176
	s_waitcnt lgkmcnt(14)
	v_add_f64 v[84:85], v[0:1], v[4:5]
	v_add_f64 v[86:87], v[2:3], v[6:7]
	s_waitcnt lgkmcnt(13)
	v_add_f64 v[88:89], v[48:49], v[52:53]
	v_add_f64 v[90:91], v[50:51], -v[54:55]
	v_add_f64 v[92:93], v[4:5], -v[48:49]
	;; [unrolled: 1-line block ×3, first 2 shown]
	v_add_f64 v[96:97], v[50:51], v[54:55]
	v_add_f64 v[98:99], v[48:49], -v[52:53]
	v_add_f64 v[100:101], v[6:7], -v[50:51]
	;; [unrolled: 1-line block ×3, first 2 shown]
	s_waitcnt lgkmcnt(11)
	v_add_f64 v[106:107], v[4:5], v[56:57]
	v_add_f64 v[108:109], v[4:5], -v[56:57]
	v_add_f64 v[4:5], v[6:7], v[58:59]
	s_waitcnt lgkmcnt(7)
	v_add_f64 v[114:115], v[60:61], v[64:65]
	v_add_f64 v[117:118], v[62:63], v[66:67]
	s_waitcnt lgkmcnt(3)
	v_add_f64 v[119:120], v[68:69], v[76:77]
	v_add_f64 v[123:124], v[70:71], v[78:79]
	;; [unrolled: 1-line block ×4, first 2 shown]
	s_waitcnt lgkmcnt(1)
	v_add_f64 v[84:85], v[64:65], v[80:81]
	v_add_f64 v[86:87], v[66:67], v[82:83]
	v_fma_f64 v[88:89], v[88:89], -0.5, v[0:1]
	v_fma_f64 v[0:1], v[106:107], -0.5, v[0:1]
	v_fma_f64 v[96:97], v[96:97], -0.5, v[2:3]
	v_fma_f64 v[106:107], v[4:5], -0.5, v[2:3]
	v_add_f64 v[2:3], v[64:65], -v[68:69]
	v_add_f64 v[4:5], v[68:69], -v[64:65]
	v_fma_f64 v[119:120], v[119:120], -0.5, v[60:61]
	v_fma_f64 v[60:61], v[84:85], -0.5, v[60:61]
	v_fma_f64 v[84:85], v[123:124], -0.5, v[62:63]
	v_fma_f64 v[62:63], v[86:87], -0.5, v[62:63]
	v_add_f64 v[86:87], v[68:69], -v[76:77]
	v_add_f64 v[68:69], v[114:115], v[68:69]
	v_add_f64 v[114:115], v[117:118], v[70:71]
	v_add_f64 v[104:105], v[6:7], -v[58:59]
	v_add_f64 v[6:7], v[56:57], -v[52:53]
	;; [unrolled: 1-line block ×5, first 2 shown]
	v_add_f64 v[48:49], v[48:49], v[52:53]
	v_add_f64 v[50:51], v[50:51], v[54:55]
	v_add_f64 v[52:53], v[80:81], -v[76:77]
	v_add_f64 v[54:55], v[76:77], -v[80:81]
	v_add_f64 v[68:69], v[68:69], v[76:77]
	v_add_f64 v[76:77], v[114:115], v[78:79]
	v_add_f64 v[121:122], v[70:71], -v[78:79]
	v_add_f64 v[123:124], v[66:67], -v[70:71]
	;; [unrolled: 1-line block ×7, first 2 shown]
	v_add_f64 v[48:49], v[48:49], v[56:57]
	v_add_f64 v[50:51], v[50:51], v[58:59]
	;; [unrolled: 1-line block ×5, first 2 shown]
	v_fma_f64 v[80:81], v[90:91], s[10:11], v[0:1]
	v_fma_f64 v[82:83], v[90:91], s[2:3], v[0:1]
	v_add_f64 v[58:59], v[100:101], v[112:113]
	v_add_f64 v[100:101], v[102:103], v[117:118]
	v_fma_f64 v[102:103], v[121:122], s[10:11], v[60:61]
	v_fma_f64 v[60:61], v[121:122], s[2:3], v[60:61]
	v_add_f64 v[52:53], v[2:3], v[52:53]
	v_add_f64 v[54:55], v[4:5], v[54:55]
	v_fma_f64 v[76:77], v[104:105], s[2:3], v[88:89]
	v_add_f64 v[0:1], v[48:49], v[6:7]
	v_add_f64 v[2:3], v[50:51], v[68:69]
	v_add_f64 v[4:5], v[48:49], -v[6:7]
	v_add_f64 v[6:7], v[50:51], -v[68:69]
	v_fma_f64 v[48:49], v[86:87], s[2:3], v[62:63]
	v_fma_f64 v[50:51], v[98:99], s[2:3], v[106:107]
	;; [unrolled: 1-line block ×13, first 2 shown]
	v_add_f64 v[94:95], v[94:95], v[110:111]
	v_add_f64 v[70:71], v[70:71], v[78:79]
	v_fma_f64 v[50:51], v[108:109], s[16:17], v[50:51]
	v_fma_f64 v[48:49], v[64:65], s[16:17], v[48:49]
	;; [unrolled: 1-line block ×6, first 2 shown]
	v_add_f64 v[92:93], v[123:124], v[114:115]
	v_fma_f64 v[106:107], v[121:122], s[16:17], v[106:107]
	v_fma_f64 v[76:77], v[90:91], s[6:7], v[76:77]
	;; [unrolled: 1-line block ×19, first 2 shown]
	s_waitcnt lgkmcnt(0)
	s_barrier
	v_fma_f64 v[66:67], v[92:93], s[4:5], v[66:67]
	ds_write_b128 v73, v[0:3]
	ds_write_b128 v73, v[4:7] offset:80
	v_mul_f64 v[0:1], v[102:103], s[14:15]
	v_mul_f64 v[2:3], v[102:103], s[16:17]
	;; [unrolled: 1-line block ×4, first 2 shown]
	v_fma_f64 v[68:69], v[108:109], s[6:7], v[68:69]
	v_fma_f64 v[78:79], v[58:59], s[4:5], v[78:79]
	;; [unrolled: 1-line block ×3, first 2 shown]
	v_mul_f64 v[58:59], v[54:55], s[4:5]
	v_mul_f64 v[84:85], v[62:63], s[4:5]
	;; [unrolled: 1-line block ×4, first 2 shown]
	v_add_f64 v[86:87], v[28:29], v[44:45]
	v_fma_f64 v[104:105], v[66:67], s[6:7], v[0:1]
	v_fma_f64 v[66:67], v[66:67], s[14:15], v[2:3]
	;; [unrolled: 1-line block ×5, first 2 shown]
	v_fma_f64 v[62:63], v[62:63], s[2:3], -v[58:59]
	v_fma_f64 v[84:85], v[54:55], s[10:11], -v[84:85]
	;; [unrolled: 1-line block ×4, first 2 shown]
	v_add_f64 v[70:71], v[36:37], v[40:41]
	v_add_f64 v[0:1], v[76:77], v[104:105]
	;; [unrolled: 1-line block ×5, first 2 shown]
	v_add_f64 v[117:118], v[80:81], -v[106:107]
	v_add_f64 v[119:120], v[94:95], -v[119:120]
	v_fma_f64 v[94:95], v[86:87], -0.5, v[32:33]
	v_add_f64 v[80:81], v[38:39], -v[42:43]
	v_add_f64 v[52:53], v[82:83], v[62:63]
	v_add_f64 v[54:55], v[68:69], v[84:85]
	;; [unrolled: 1-line block ×4, first 2 shown]
	v_add_f64 v[108:109], v[36:37], -v[28:29]
	v_add_f64 v[90:91], v[40:41], -v[44:45]
	v_add_f64 v[100:101], v[30:31], v[46:47]
	v_add_f64 v[60:61], v[38:39], v[42:43]
	v_add_f64 v[6:7], v[78:79], -v[66:67]
	v_add_f64 v[121:122], v[82:83], -v[62:63]
	ds_write_b128 v73, v[0:3] offset:16
	ds_write_b128 v73, v[48:51] offset:32
	;; [unrolled: 1-line block ×4, first 2 shown]
	v_add_f64 v[82:83], v[30:31], -v[46:47]
	v_fma_f64 v[66:67], v[70:71], -0.5, v[32:33]
	v_fma_f64 v[48:49], v[80:81], s[2:3], v[94:95]
	v_add_f64 v[98:99], v[28:29], -v[36:37]
	v_add_f64 v[137:138], v[44:45], -v[40:41]
	;; [unrolled: 1-line block ×3, first 2 shown]
	v_fma_f64 v[100:101], v[100:101], -0.5, v[34:35]
	v_add_f64 v[86:87], v[28:29], -v[44:45]
	v_fma_f64 v[78:79], v[60:61], -0.5, v[34:35]
	v_add_f64 v[84:85], v[36:37], -v[40:41]
	v_add_f64 v[50:51], v[30:31], -v[38:39]
	;; [unrolled: 1-line block ×3, first 2 shown]
	v_fma_f64 v[58:59], v[82:83], s[10:11], v[66:67]
	v_add_f64 v[90:91], v[108:109], v[90:91]
	v_fma_f64 v[48:49], v[82:83], s[6:7], v[48:49]
	v_add_f64 v[0:1], v[38:39], -v[30:31]
	v_add_f64 v[2:3], v[42:43], -v[46:47]
	v_fma_f64 v[54:55], v[86:87], s[2:3], v[78:79]
	v_fma_f64 v[56:57], v[84:85], s[10:11], v[100:101]
	v_add_f64 v[68:69], v[98:99], v[137:138]
	v_add_f64 v[70:71], v[50:51], v[52:53]
	v_fma_f64 v[50:51], v[80:81], s[6:7], v[58:59]
	v_fma_f64 v[48:49], v[90:91], s[4:5], v[48:49]
	v_add_f64 v[129:130], v[24:25], -v[16:17]
	v_add_f64 v[131:132], v[8:9], -v[12:13]
	;; [unrolled: 1-line block ×9, first 2 shown]
	v_add_f64 v[92:93], v[0:1], v[2:3]
	v_fma_f64 v[0:1], v[84:85], s[16:17], v[54:55]
	v_fma_f64 v[2:3], v[86:87], s[16:17], v[56:57]
	;; [unrolled: 1-line block ×3, first 2 shown]
	v_add_f64 v[52:53], v[16:17], v[12:13]
	v_add_f64 v[54:55], v[24:25], v[8:9]
	v_mul_f64 v[56:57], v[48:49], s[14:15]
	v_mul_f64 v[58:59], v[48:49], s[16:17]
	v_add_f64 v[48:49], v[18:19], v[14:15]
	v_add_f64 v[62:63], v[26:27], v[10:11]
	v_add_f64 v[4:5], v[76:77], -v[104:105]
	v_add_f64 v[127:128], v[96:97], -v[102:103]
	v_add_f64 v[106:107], v[129:130], v[131:132]
	v_add_f64 v[102:103], v[133:134], v[112:113]
	;; [unrolled: 1-line block ×4, first 2 shown]
	v_fma_f64 v[0:1], v[70:71], s[4:5], v[0:1]
	v_fma_f64 v[2:3], v[92:93], s[4:5], v[2:3]
	v_mul_f64 v[129:130], v[50:51], s[10:11]
	v_fma_f64 v[76:77], v[52:53], -0.5, v[20:21]
	v_fma_f64 v[64:65], v[54:55], -0.5, v[20:21]
	v_add_f64 v[112:113], v[26:27], -v[10:11]
	v_add_f64 v[114:115], v[18:19], -v[14:15]
	v_fma_f64 v[108:109], v[48:49], -0.5, v[22:23]
	v_add_f64 v[104:105], v[24:25], -v[8:9]
	v_fma_f64 v[88:89], v[62:63], -0.5, v[22:23]
	v_add_f64 v[110:111], v[16:17], -v[12:13]
	v_mul_f64 v[60:61], v[0:1], s[2:3]
	v_fma_f64 v[48:49], v[2:3], s[6:7], v[56:57]
	v_fma_f64 v[56:57], v[2:3], s[14:15], v[58:59]
	;; [unrolled: 1-line block ×8, first 2 shown]
	ds_write_b128 v73, v[4:7] offset:96
	ds_write_b128 v73, v[117:120] offset:112
	;; [unrolled: 1-line block ×4, first 2 shown]
	v_fma_f64 v[0:1], v[114:115], s[6:7], v[0:1]
	v_fma_f64 v[2:3], v[110:111], s[16:17], v[2:3]
	;; [unrolled: 1-line block ×8, first 2 shown]
	v_add_f64 v[0:1], v[52:53], -v[48:49]
	v_add_f64 v[2:3], v[60:61], -v[56:57]
	;; [unrolled: 1-line block ×4, first 2 shown]
	s_and_saveexec_b64 s[18:19], vcc
	s_cbranch_execz .LBB0_19
; %bb.18:
	v_mul_f64 v[117:118], v[84:85], s[2:3]
	v_mul_f64 v[119:120], v[80:81], s[2:3]
	;; [unrolled: 1-line block ×8, first 2 shown]
	v_add_f64 v[100:101], v[100:101], v[117:118]
	v_add_f64 v[94:95], v[94:95], -v[119:120]
	v_mul_f64 v[119:120], v[86:87], s[6:7]
	v_mul_f64 v[86:87], v[86:87], s[2:3]
	v_add_f64 v[108:109], v[108:109], v[123:124]
	v_mul_f64 v[123:124], v[110:111], s[6:7]
	v_mul_f64 v[110:111], v[110:111], s[2:3]
	v_mul_f64 v[70:71], v[70:71], s[4:5]
	v_add_f64 v[22:23], v[22:23], v[26:27]
	v_add_f64 v[26:27], v[34:35], v[38:39]
	;; [unrolled: 1-line block ×3, first 2 shown]
	v_mul_f64 v[119:120], v[82:83], s[6:7]
	v_mul_f64 v[82:83], v[82:83], s[2:3]
	v_add_f64 v[78:79], v[78:79], -v[86:87]
	v_add_f64 v[88:89], v[88:89], -v[110:111]
	v_mul_f64 v[117:118], v[114:115], s[6:7]
	v_mul_f64 v[92:93], v[92:93], s[4:5]
	;; [unrolled: 1-line block ×4, first 2 shown]
	v_add_f64 v[94:95], v[94:95], -v[119:120]
	v_add_f64 v[66:67], v[82:83], v[66:67]
	v_add_f64 v[78:79], v[84:85], v[78:79]
	;; [unrolled: 1-line block ×5, first 2 shown]
	v_add_f64 v[26:27], v[76:77], -v[121:122]
	v_add_f64 v[20:21], v[20:21], v[24:25]
	v_add_f64 v[90:91], v[90:91], v[94:95]
	v_add_f64 v[66:67], v[66:67], -v[80:81]
	v_add_f64 v[70:71], v[70:71], v[78:79]
	v_add_f64 v[24:25], v[32:33], v[36:37]
	v_mul_f64 v[114:115], v[114:115], s[2:3]
	v_add_f64 v[92:93], v[92:93], v[100:101]
	v_add_f64 v[30:31], v[96:97], v[34:35]
	;; [unrolled: 1-line block ×5, first 2 shown]
	v_mul_f64 v[34:35], v[70:71], s[4:5]
	v_add_f64 v[22:23], v[26:27], -v[117:118]
	v_mul_f64 v[26:27], v[90:91], s[14:15]
	v_add_f64 v[16:17], v[20:21], v[16:17]
	v_add_f64 v[20:21], v[24:25], v[28:29]
	v_mul_f64 v[112:113], v[112:113], s[6:7]
	v_add_f64 v[24:25], v[114:115], v[64:65]
	v_mul_f64 v[98:99], v[98:99], s[4:5]
	;; [unrolled: 2-line block ×3, first 2 shown]
	v_fma_f64 v[28:29], v[32:33], s[10:11], -v[34:35]
	v_add_f64 v[18:19], v[18:19], v[42:43]
	v_fma_f64 v[42:43], v[92:93], s[6:7], -v[26:27]
	v_add_f64 v[26:27], v[16:17], v[12:13]
	v_add_f64 v[34:35], v[20:21], v[44:45]
	v_mul_f64 v[102:103], v[102:103], s[4:5]
	v_add_f64 v[24:25], v[24:25], -v[112:113]
	v_mul_f64 v[32:33], v[32:33], s[4:5]
	v_mul_f64 v[106:107], v[106:107], s[4:5]
	v_add_f64 v[38:39], v[98:99], v[86:87]
	v_fma_f64 v[82:83], v[90:91], s[16:17], -v[94:95]
	v_add_f64 v[14:15], v[14:15], v[10:11]
	v_add_f64 v[8:9], v[26:27], v[8:9]
	;; [unrolled: 1-line block ×4, first 2 shown]
	v_fma_f64 v[64:65], v[70:71], s[2:3], -v[32:33]
	v_add_f64 v[22:23], v[106:107], v[22:23]
	v_add_f64 v[36:37], v[60:61], v[56:57]
	v_add_f64 v[12:13], v[38:39], -v[82:83]
	v_add_f64 v[24:25], v[38:39], v[82:83]
	v_add_f64 v[40:41], v[14:15], v[18:19]
	;; [unrolled: 1-line block ×4, first 2 shown]
	v_add_f64 v[16:17], v[30:31], -v[28:29]
	v_add_f64 v[28:29], v[30:31], v[28:29]
	v_add_f64 v[32:33], v[62:63], v[58:59]
	;; [unrolled: 1-line block ×4, first 2 shown]
	v_add_f64 v[10:11], v[22:23], -v[42:43]
	v_add_f64 v[22:23], v[22:23], v[42:43]
	v_add_f64 v[20:21], v[14:15], -v[18:19]
	v_add_f64 v[18:19], v[8:9], -v[44:45]
	v_mul_u32_u24_e32 v73, 0x90, v72
	v_add_u32_e32 v8, v116, v73
	v_add_f64 v[14:15], v[46:47], -v[64:65]
	ds_write_b128 v8, v[38:41] offset:14400
	ds_write_b128 v8, v[34:37] offset:14416
	;; [unrolled: 1-line block ×10, first 2 shown]
.LBB0_19:
	s_or_b64 exec, exec, s[18:19]
	s_movk_i32 s2, 0xcd
	v_mul_lo_u16_sdwa v8, v72, s2 dst_sel:DWORD dst_unused:UNUSED_PAD src0_sel:BYTE_0 src1_sel:DWORD
	v_lshrrev_b16_e32 v12, 11, v8
	v_mul_lo_u16_e32 v8, 10, v12
	v_sub_u16_e32 v13, v72, v8
	v_mov_b32_e32 v8, 15
	v_mul_u32_u24_sdwa v8, v13, v8 dst_sel:DWORD dst_unused:UNUSED_PAD src0_sel:BYTE_0 src1_sel:DWORD
	v_lshlrev_b32_e32 v70, 4, v8
	s_waitcnt lgkmcnt(0)
	s_barrier
	global_load_dwordx4 v[8:11], v70, s[8:9]
	global_load_dwordx4 v[14:17], v70, s[8:9] offset:16
	global_load_dwordx4 v[18:21], v70, s[8:9] offset:32
	;; [unrolled: 1-line block ×14, first 2 shown]
	ds_read_b128 v[76:79], v116
	ds_read_b128 v[80:83], v116 offset:1440
	ds_read_b128 v[84:87], v116 offset:2880
	;; [unrolled: 1-line block ×10, first 2 shown]
	s_mov_b32 s2, 0x667f3bcd
	s_mov_b32 s3, 0xbfe6a09e
	;; [unrolled: 1-line block ×12, first 2 shown]
	v_mul_u32_u24_e32 v12, 0xa0, v12
	v_or_b32_sdwa v12, v12, v13 dst_sel:DWORD dst_unused:UNUSED_PAD src0_sel:DWORD src1_sel:BYTE_0
	v_lshl_add_u32 v12, v12, 4, 0
	v_cmp_gt_u32_e32 vcc, 30, v72
	s_waitcnt vmcnt(14) lgkmcnt(9)
	v_mul_f64 v[70:71], v[82:83], v[10:11]
	v_mul_f64 v[10:11], v[80:81], v[10:11]
	s_waitcnt vmcnt(13) lgkmcnt(8)
	v_mul_f64 v[121:122], v[86:87], v[16:17]
	v_mul_f64 v[16:17], v[84:85], v[16:17]
	v_fma_f64 v[70:71], v[80:81], v[8:9], -v[70:71]
	v_fma_f64 v[80:81], v[82:83], v[8:9], v[10:11]
	ds_read_b128 v[8:11], v116 offset:15840
	s_waitcnt vmcnt(12) lgkmcnt(8)
	v_mul_f64 v[82:83], v[90:91], v[20:21]
	v_mul_f64 v[20:21], v[88:89], v[20:21]
	v_fma_f64 v[84:85], v[84:85], v[14:15], -v[121:122]
	s_waitcnt vmcnt(11) lgkmcnt(7)
	v_mul_f64 v[121:122], v[94:95], v[24:25]
	v_mul_f64 v[24:25], v[92:93], v[24:25]
	v_fma_f64 v[86:87], v[86:87], v[14:15], v[16:17]
	ds_read_b128 v[14:17], v116 offset:17280
	v_fma_f64 v[82:83], v[88:89], v[18:19], -v[82:83]
	v_fma_f64 v[88:89], v[90:91], v[18:19], v[20:21]
	ds_read_b128 v[18:21], v116 offset:18720
	s_waitcnt vmcnt(10) lgkmcnt(8)
	v_mul_f64 v[90:91], v[98:99], v[28:29]
	v_mul_f64 v[28:29], v[96:97], v[28:29]
	v_fma_f64 v[92:93], v[92:93], v[22:23], -v[121:122]
	s_waitcnt vmcnt(9) lgkmcnt(7)
	v_mul_f64 v[121:122], v[102:103], v[32:33]
	v_mul_f64 v[32:33], v[100:101], v[32:33]
	v_fma_f64 v[94:95], v[94:95], v[22:23], v[24:25]
	ds_read_b128 v[22:25], v116 offset:20160
	v_fma_f64 v[90:91], v[96:97], v[26:27], -v[90:91]
	v_fma_f64 v[96:97], v[98:99], v[26:27], v[28:29]
	ds_read_b128 v[26:29], v116 offset:21600
	s_waitcnt vmcnt(8) lgkmcnt(8)
	v_mul_f64 v[98:99], v[106:107], v[36:37]
	v_mul_f64 v[36:37], v[104:105], v[36:37]
	v_fma_f64 v[100:101], v[100:101], v[30:31], -v[121:122]
	v_fma_f64 v[30:31], v[102:103], v[30:31], v[32:33]
	s_waitcnt vmcnt(7) lgkmcnt(7)
	v_mul_f64 v[32:33], v[110:111], v[40:41]
	v_mul_f64 v[40:41], v[108:109], v[40:41]
	s_waitcnt vmcnt(6) lgkmcnt(6)
	v_mul_f64 v[102:103], v[114:115], v[44:45]
	v_mul_f64 v[44:45], v[112:113], v[44:45]
	v_fma_f64 v[98:99], v[104:105], v[34:35], -v[98:99]
	v_fma_f64 v[34:35], v[106:107], v[34:35], v[36:37]
	s_waitcnt vmcnt(5) lgkmcnt(5)
	v_mul_f64 v[36:37], v[119:120], v[48:49]
	v_mul_f64 v[48:49], v[117:118], v[48:49]
	v_fma_f64 v[32:33], v[108:109], v[38:39], -v[32:33]
	v_fma_f64 v[38:39], v[110:111], v[38:39], v[40:41]
	s_waitcnt vmcnt(3) lgkmcnt(3)
	v_mul_f64 v[40:41], v[16:17], v[56:57]
	v_fma_f64 v[102:103], v[112:113], v[42:43], -v[102:103]
	v_fma_f64 v[42:43], v[114:115], v[42:43], v[44:45]
	s_waitcnt vmcnt(1) lgkmcnt(1)
	v_mul_f64 v[44:45], v[24:25], v[64:65]
	v_mul_f64 v[56:57], v[14:15], v[56:57]
	;; [unrolled: 1-line block ×3, first 2 shown]
	v_fma_f64 v[36:37], v[117:118], v[46:47], -v[36:37]
	v_fma_f64 v[46:47], v[119:120], v[46:47], v[48:49]
	v_fma_f64 v[14:15], v[14:15], v[54:55], -v[40:41]
	v_mul_f64 v[104:105], v[10:11], v[52:53]
	v_mul_f64 v[52:53], v[8:9], v[52:53]
	v_fma_f64 v[22:23], v[22:23], v[62:63], -v[44:45]
	v_fma_f64 v[16:17], v[16:17], v[54:55], v[56:57]
	v_fma_f64 v[24:25], v[24:25], v[62:63], v[64:65]
	v_add_f64 v[32:33], v[76:77], -v[32:33]
	v_add_f64 v[36:37], v[84:85], -v[36:37]
	v_add_f64 v[14:15], v[92:93], -v[14:15]
	v_add_f64 v[38:39], v[78:79], -v[38:39]
	v_add_f64 v[40:41], v[86:87], -v[46:47]
	v_add_f64 v[22:23], v[100:101], -v[22:23]
	v_add_f64 v[16:17], v[94:95], -v[16:17]
	v_add_f64 v[24:25], v[30:31], -v[24:25]
	v_mul_f64 v[106:107], v[20:21], v[60:61]
	s_waitcnt vmcnt(0) lgkmcnt(0)
	v_mul_f64 v[108:109], v[28:29], v[68:69]
	v_fma_f64 v[10:11], v[10:11], v[50:51], v[52:53]
	v_fma_f64 v[44:45], v[76:77], 2.0, -v[32:33]
	v_fma_f64 v[48:49], v[92:93], 2.0, -v[14:15]
	;; [unrolled: 1-line block ×4, first 2 shown]
	v_mul_f64 v[60:61], v[18:19], v[60:61]
	v_mul_f64 v[68:69], v[26:27], v[68:69]
	v_fma_f64 v[8:9], v[8:9], v[50:51], -v[104:105]
	v_fma_f64 v[46:47], v[78:79], 2.0, -v[38:39]
	v_fma_f64 v[50:51], v[94:95], 2.0, -v[16:17]
	;; [unrolled: 1-line block ×4, first 2 shown]
	v_fma_f64 v[18:19], v[18:19], v[58:59], -v[106:107]
	v_fma_f64 v[26:27], v[26:27], v[66:67], -v[108:109]
	v_add_f64 v[48:49], v[44:45], -v[48:49]
	v_add_f64 v[56:57], v[52:53], -v[56:57]
	v_fma_f64 v[20:21], v[20:21], v[58:59], v[60:61]
	v_fma_f64 v[28:29], v[28:29], v[66:67], v[68:69]
	v_add_f64 v[50:51], v[46:47], -v[50:51]
	v_add_f64 v[30:31], v[54:55], -v[30:31]
	;; [unrolled: 1-line block ×10, first 2 shown]
	v_fma_f64 v[44:45], v[44:45], 2.0, -v[48:49]
	v_fma_f64 v[52:53], v[52:53], 2.0, -v[56:57]
	v_add_f64 v[20:21], v[96:97], -v[20:21]
	v_add_f64 v[28:29], v[34:35], -v[28:29]
	v_add_f64 v[14:15], v[38:39], v[14:15]
	v_add_f64 v[22:23], v[40:41], v[22:23]
	v_fma_f64 v[46:47], v[46:47], 2.0, -v[50:51]
	v_fma_f64 v[54:55], v[54:55], 2.0, -v[30:31]
	v_fma_f64 v[60:61], v[70:71], 2.0, -v[58:59]
	v_fma_f64 v[64:65], v[90:91], 2.0, -v[18:19]
	v_fma_f64 v[68:69], v[82:83], 2.0, -v[8:9]
	v_fma_f64 v[76:77], v[98:99], 2.0, -v[26:27]
	v_add_f64 v[18:19], v[42:43], v[18:19]
	v_add_f64 v[26:27], v[10:11], v[26:27]
	v_add_f64 v[82:83], v[44:45], -v[52:53]
	v_fma_f64 v[52:53], v[24:25], s[4:5], v[16:17]
	v_fma_f64 v[62:63], v[80:81], 2.0, -v[42:43]
	v_fma_f64 v[66:67], v[96:97], 2.0, -v[20:21]
	;; [unrolled: 1-line block ×6, first 2 shown]
	v_add_f64 v[20:21], v[58:59], -v[20:21]
	v_add_f64 v[28:29], v[8:9], -v[28:29]
	;; [unrolled: 1-line block ×3, first 2 shown]
	v_fma_f64 v[54:55], v[22:23], s[4:5], v[14:15]
	v_add_f64 v[64:65], v[60:61], -v[64:65]
	v_add_f64 v[76:77], v[68:69], -v[76:77]
	v_fma_f64 v[42:43], v[42:43], 2.0, -v[18:19]
	v_fma_f64 v[10:11], v[10:11], 2.0, -v[26:27]
	v_add_f64 v[86:87], v[48:49], -v[30:31]
	v_fma_f64 v[90:91], v[22:23], s[2:3], v[52:53]
	v_fma_f64 v[32:33], v[32:33], 2.0, -v[16:17]
	v_fma_f64 v[36:37], v[36:37], 2.0, -v[24:25]
	v_add_f64 v[66:67], v[62:63], -v[66:67]
	v_add_f64 v[34:35], v[70:71], -v[34:35]
	v_fma_f64 v[58:59], v[58:59], 2.0, -v[20:21]
	v_fma_f64 v[8:9], v[8:9], 2.0, -v[28:29]
	v_fma_f64 v[80:81], v[40:41], s[2:3], v[38:39]
	v_add_f64 v[88:89], v[50:51], v[56:57]
	v_fma_f64 v[92:93], v[24:25], s[4:5], v[54:55]
	v_fma_f64 v[60:61], v[60:61], 2.0, -v[64:65]
	v_fma_f64 v[68:69], v[68:69], 2.0, -v[76:77]
	;; [unrolled: 1-line block ×4, first 2 shown]
	v_fma_f64 v[24:25], v[10:11], s[2:3], v[42:43]
	v_fma_f64 v[48:49], v[16:17], 2.0, -v[90:91]
	v_fma_f64 v[16:17], v[26:27], s[4:5], v[18:19]
	v_fma_f64 v[62:63], v[62:63], 2.0, -v[66:67]
	v_fma_f64 v[70:71], v[70:71], 2.0, -v[34:35]
	v_fma_f64 v[78:79], v[36:37], s[2:3], v[32:33]
	v_fma_f64 v[80:81], v[36:37], s[4:5], v[80:81]
	v_fma_f64 v[36:37], v[46:47], 2.0, -v[84:85]
	v_fma_f64 v[46:47], v[50:51], 2.0, -v[88:89]
	v_fma_f64 v[22:23], v[8:9], s[2:3], v[58:59]
	v_fma_f64 v[50:51], v[14:15], 2.0, -v[92:93]
	v_fma_f64 v[14:15], v[28:29], s[4:5], v[20:21]
	v_add_f64 v[52:53], v[60:61], -v[68:69]
	v_fma_f64 v[8:9], v[8:9], s[4:5], v[24:25]
	v_add_f64 v[56:57], v[64:65], -v[34:35]
	v_add_f64 v[68:69], v[66:67], v[76:77]
	v_fma_f64 v[76:77], v[28:29], s[4:5], v[16:17]
	v_fma_f64 v[78:79], v[40:41], s[2:3], v[78:79]
	v_add_f64 v[54:55], v[62:63], -v[70:71]
	v_fma_f64 v[10:11], v[10:11], s[2:3], v[22:23]
	v_fma_f64 v[70:71], v[26:27], s[2:3], v[14:15]
	v_fma_f64 v[38:39], v[38:39], 2.0, -v[80:81]
	v_fma_f64 v[24:25], v[42:43], 2.0, -v[8:9]
	;; [unrolled: 1-line block ×9, first 2 shown]
	v_fma_f64 v[20:21], v[24:25], s[6:7], v[38:39]
	v_fma_f64 v[42:43], v[26:27], s[2:3], v[44:45]
	;; [unrolled: 1-line block ×3, first 2 shown]
	v_fma_f64 v[14:15], v[60:61], 2.0, -v[52:53]
	v_fma_f64 v[58:59], v[28:29], s[2:3], v[46:47]
	v_fma_f64 v[18:19], v[22:23], s[6:7], v[40:41]
	;; [unrolled: 1-line block ×3, first 2 shown]
	v_add_f64 v[16:17], v[36:37], -v[16:17]
	v_fma_f64 v[20:21], v[22:23], s[14:15], v[20:21]
	v_fma_f64 v[22:23], v[28:29], s[2:3], v[42:43]
	;; [unrolled: 1-line block ×8, first 2 shown]
	v_fma_f64 v[32:33], v[36:37], 2.0, -v[16:17]
	v_fma_f64 v[36:37], v[38:39], 2.0, -v[20:21]
	;; [unrolled: 1-line block ×4, first 2 shown]
	v_fma_f64 v[50:51], v[10:11], s[14:15], v[78:79]
	v_fma_f64 v[58:59], v[8:9], s[14:15], v[80:81]
	;; [unrolled: 1-line block ×4, first 2 shown]
	v_add_f64 v[14:15], v[30:31], -v[14:15]
	v_fma_f64 v[34:35], v[40:41], 2.0, -v[18:19]
	v_fma_f64 v[40:41], v[46:47], 2.0, -v[24:25]
	;; [unrolled: 1-line block ×3, first 2 shown]
	v_add_f64 v[46:47], v[82:83], -v[54:55]
	v_add_f64 v[48:49], v[84:85], v[52:53]
	v_fma_f64 v[50:51], v[8:9], s[6:7], v[50:51]
	v_fma_f64 v[52:53], v[10:11], s[16:17], v[58:59]
	;; [unrolled: 1-line block ×6, first 2 shown]
	v_fma_f64 v[30:31], v[30:31], 2.0, -v[14:15]
	v_fma_f64 v[58:59], v[82:83], 2.0, -v[46:47]
	;; [unrolled: 1-line block ×9, first 2 shown]
	s_barrier
	ds_write_b128 v12, v[30:33]
	ds_write_b128 v12, v[34:37] offset:160
	ds_write_b128 v12, v[38:41] offset:320
	;; [unrolled: 1-line block ×15, first 2 shown]
	s_waitcnt lgkmcnt(0)
	s_barrier
	ds_read_b128 v[28:31], v116
	ds_read_b128 v[24:27], v116 offset:1440
	ds_read_b128 v[60:63], v116 offset:15360
	;; [unrolled: 1-line block ×14, first 2 shown]
	s_and_saveexec_b64 s[2:3], vcc
	s_cbranch_execz .LBB0_21
; %bb.20:
	ds_read_b128 v[8:11], v116 offset:7200
	ds_read_b128 v[0:3], v116 offset:14880
	;; [unrolled: 1-line block ×3, first 2 shown]
.LBB0_21:
	s_or_b64 exec, exec, s[2:3]
	v_lshlrev_b32_e32 v80, 1, v72
	v_mov_b32_e32 v81, 0
	v_lshlrev_b64 v[76:77], 4, v[80:81]
	v_mov_b32_e32 v117, s9
	v_add_co_u32_e64 v76, s[2:3], s8, v76
	v_addc_co_u32_e64 v77, s[2:3], v117, v77, s[2:3]
	global_load_dwordx4 v[82:85], v[76:77], off offset:2400
	global_load_dwordx4 v[86:89], v[76:77], off offset:2416
	v_add_u32_e32 v80, 40, v80
	v_lshlrev_b64 v[78:79], 4, v[80:81]
	v_add_u32_e32 v73, 0x1c2, v72
	v_add_co_u32_e64 v78, s[2:3], s8, v78
	v_addc_co_u32_e64 v79, s[2:3], v117, v79, s[2:3]
	global_load_dwordx4 v[90:93], v[78:79], off offset:2400
	global_load_dwordx4 v[94:97], v[78:79], off offset:2416
	v_add_u32_e32 v79, 0x10e, v72
	s_mov_b32 s2, 0xcccd
	v_mul_u32_u24_sdwa v100, v79, s2 dst_sel:DWORD dst_unused:UNUSED_PAD src0_sel:WORD_0 src1_sel:DWORD
	v_add_u32_e32 v78, 0x168, v72
	s_movk_i32 s3, 0x46
	v_mul_u32_u24_sdwa v101, v73, s2 dst_sel:DWORD dst_unused:UNUSED_PAD src0_sel:WORD_0 src1_sel:DWORD
	v_lshrrev_b32_e32 v120, 23, v100
	v_add_u32_e32 v80, 0x5a, v72
	v_add_u32_e32 v98, 0xffffffba, v72
	v_mov_b32_e32 v99, v81
	v_mul_u32_u24_sdwa v81, v78, s2 dst_sel:DWORD dst_unused:UNUSED_PAD src0_sel:WORD_0 src1_sel:DWORD
	v_cmp_gt_u32_e64 s[2:3], s3, v72
	v_lshrrev_b32_e32 v100, 23, v101
	v_mul_lo_u16_e32 v101, 0xa0, v120
	v_cndmask_b32_e64 v119, v98, v80, s[2:3]
	v_sub_u16_e32 v121, v79, v101
	v_lshlrev_b32_e32 v98, 1, v119
	v_lshlrev_b32_e32 v103, 5, v121
	v_mul_lo_u16_e32 v102, 0xa0, v100
	v_lshlrev_b64 v[106:107], 4, v[98:99]
	global_load_dwordx4 v[98:101], v103, s[8:9] offset:2400
	v_lshrrev_b32_e32 v81, 23, v81
	v_mul_lo_u16_e32 v81, 0xa0, v81
	v_sub_u16_e32 v122, v78, v81
	v_sub_u16_e32 v81, v73, v102
	v_lshlrev_b32_e32 v118, 5, v122
	v_add_co_u32_e64 v106, s[2:3], s8, v106
	v_addc_co_u32_e64 v107, s[2:3], v117, v107, s[2:3]
	s_mov_b32 s2, 0xe8584caa
	s_mov_b32 s3, 0x3febb67a
	;; [unrolled: 1-line block ×4, first 2 shown]
	s_waitcnt vmcnt(4) lgkmcnt(4)
	v_mul_f64 v[108:109], v[70:71], v[84:85]
	v_mul_f64 v[84:85], v[68:69], v[84:85]
	s_waitcnt vmcnt(3)
	v_mul_f64 v[110:111], v[62:63], v[88:89]
	v_mul_f64 v[88:89], v[60:61], v[88:89]
	s_waitcnt vmcnt(2)
	v_mul_f64 v[112:113], v[66:67], v[92:93]
	v_fma_f64 v[108:109], v[68:69], v[82:83], -v[108:109]
	v_fma_f64 v[114:115], v[70:71], v[82:83], v[84:85]
	v_mul_f64 v[82:83], v[64:65], v[92:93]
	v_lshlrev_b32_e32 v84, 5, v81
	v_fma_f64 v[92:93], v[60:61], v[86:87], -v[110:111]
	global_load_dwordx4 v[68:71], v118, s[8:9] offset:2400
	v_fma_f64 v[110:111], v[62:63], v[86:87], v[88:89]
	global_load_dwordx4 v[60:63], v118, s[8:9] offset:2416
	s_waitcnt vmcnt(3)
	v_mul_f64 v[86:87], v[58:59], v[96:97]
	v_fma_f64 v[112:113], v[64:65], v[90:91], -v[112:113]
	v_fma_f64 v[90:91], v[66:67], v[90:91], v[82:83]
	global_load_dwordx4 v[64:67], v84, s[8:9] offset:2400
	v_mul_f64 v[96:97], v[56:57], v[96:97]
	global_load_dwordx4 v[102:105], v103, s[8:9] offset:2416
	v_fma_f64 v[117:118], v[56:57], v[94:95], -v[86:87]
	global_load_dwordx4 v[82:85], v84, s[8:9] offset:2416
	v_fma_f64 v[94:95], v[58:59], v[94:95], v[96:97]
	global_load_dwordx4 v[86:89], v[106:107], off offset:2400
	global_load_dwordx4 v[56:59], v[106:107], off offset:2416
	s_waitcnt vmcnt(7) lgkmcnt(2)
	v_mul_f64 v[96:97], v[54:55], v[100:101]
	v_mul_f64 v[100:101], v[52:53], v[100:101]
	s_waitcnt vmcnt(0) lgkmcnt(0)
	s_barrier
	v_fma_f64 v[96:97], v[52:53], v[98:99], -v[96:97]
	v_fma_f64 v[98:99], v[54:55], v[98:99], v[100:101]
	v_mul_f64 v[54:55], v[46:47], v[70:71]
	v_mul_f64 v[70:71], v[44:45], v[70:71]
	;; [unrolled: 1-line block ×5, first 2 shown]
	v_fma_f64 v[70:71], v[46:47], v[68:69], v[70:71]
	v_fma_f64 v[104:105], v[48:49], v[102:103], -v[106:107]
	v_fma_f64 v[102:103], v[50:51], v[102:103], v[52:53]
	v_mul_f64 v[48:49], v[40:41], v[62:63]
	v_mul_f64 v[50:51], v[2:3], v[66:67]
	;; [unrolled: 1-line block ×4, first 2 shown]
	v_fma_f64 v[66:67], v[44:45], v[68:69], -v[54:55]
	v_mul_f64 v[44:45], v[4:5], v[84:85]
	v_fma_f64 v[84:85], v[40:41], v[60:61], -v[100:101]
	v_mul_f64 v[40:41], v[38:39], v[88:89]
	v_mul_f64 v[46:47], v[34:35], v[58:59]
	v_fma_f64 v[100:101], v[42:43], v[60:61], v[48:49]
	v_mul_f64 v[42:43], v[36:37], v[88:89]
	v_fma_f64 v[0:1], v[0:1], v[64:65], -v[50:51]
	v_mul_f64 v[48:49], v[32:33], v[58:59]
	v_add_f64 v[50:51], v[108:109], v[92:93]
	v_fma_f64 v[6:7], v[6:7], v[82:83], v[44:45]
	v_fma_f64 v[40:41], v[36:37], v[86:87], -v[40:41]
	v_fma_f64 v[44:45], v[32:33], v[56:57], -v[46:47]
	v_add_f64 v[46:47], v[114:115], v[110:111]
	v_fma_f64 v[2:3], v[2:3], v[64:65], v[52:53]
	v_add_f64 v[32:33], v[28:29], v[108:109]
	v_add_f64 v[36:37], v[114:115], -v[110:111]
	v_fma_f64 v[50:51], v[50:51], -0.5, v[28:29]
	v_fma_f64 v[42:43], v[38:39], v[86:87], v[42:43]
	v_fma_f64 v[48:49], v[34:35], v[56:57], v[48:49]
	v_add_f64 v[34:35], v[30:31], v[114:115]
	v_add_f64 v[38:39], v[40:41], v[44:45]
	v_fma_f64 v[46:47], v[46:47], -0.5, v[30:31]
	v_add_f64 v[52:53], v[108:109], -v[92:93]
	v_add_f64 v[28:29], v[32:33], v[92:93]
	v_fma_f64 v[32:33], v[36:37], s[2:3], v[50:51]
	v_fma_f64 v[36:37], v[36:37], s[4:5], v[50:51]
	v_add_f64 v[50:51], v[24:25], v[40:41]
	v_add_f64 v[30:31], v[34:35], v[110:111]
	v_add_f64 v[54:55], v[42:43], v[48:49]
	v_fma_f64 v[56:57], v[38:39], -0.5, v[24:25]
	v_add_f64 v[58:59], v[42:43], -v[48:49]
	v_fma_f64 v[34:35], v[52:53], s[4:5], v[46:47]
	v_fma_f64 v[38:39], v[52:53], s[2:3], v[46:47]
	v_add_f64 v[42:43], v[26:27], v[42:43]
	v_add_f64 v[46:47], v[112:113], v[117:118]
	v_add_f64 v[24:25], v[50:51], v[44:45]
	v_fma_f64 v[50:51], v[54:55], -0.5, v[26:27]
	v_add_f64 v[52:53], v[40:41], -v[44:45]
	;; [unrolled: 7-line block ×3, first 2 shown]
	v_fma_f64 v[4:5], v[4:5], v[82:83], -v[62:63]
	v_fma_f64 v[42:43], v[52:53], s[4:5], v[50:51]
	v_add_f64 v[60:61], v[22:23], v[90:91]
	v_fma_f64 v[46:47], v[52:53], s[2:3], v[50:51]
	v_add_f64 v[20:21], v[54:55], v[117:118]
	v_add_f64 v[50:51], v[96:97], v[104:105]
	v_fma_f64 v[54:55], v[48:49], -0.5, v[22:23]
	v_add_f64 v[62:63], v[112:113], -v[117:118]
	v_fma_f64 v[48:49], v[58:59], s[2:3], v[56:57]
	v_fma_f64 v[52:53], v[58:59], s[4:5], v[56:57]
	v_add_f64 v[56:57], v[98:99], v[102:103]
	v_add_f64 v[22:23], v[60:61], v[94:95]
	;; [unrolled: 1-line block ×3, first 2 shown]
	v_fma_f64 v[60:61], v[50:51], -0.5, v[16:17]
	v_add_f64 v[68:69], v[66:67], v[84:85]
	v_fma_f64 v[50:51], v[62:63], s[4:5], v[54:55]
	v_fma_f64 v[54:55], v[62:63], s[2:3], v[54:55]
	v_add_f64 v[62:63], v[18:19], v[98:99]
	v_fma_f64 v[82:83], v[56:57], -0.5, v[18:19]
	v_add_f64 v[86:87], v[96:97], -v[104:105]
	v_add_f64 v[64:65], v[98:99], -v[102:103]
	v_add_f64 v[16:17], v[58:59], v[104:105]
	v_fma_f64 v[68:69], v[68:69], -0.5, v[12:13]
	v_add_f64 v[90:91], v[70:71], -v[100:101]
	v_add_f64 v[88:89], v[12:13], v[66:67]
	v_add_f64 v[18:19], v[62:63], v[102:103]
	;; [unrolled: 1-line block ×3, first 2 shown]
	v_fma_f64 v[58:59], v[86:87], s[4:5], v[82:83]
	v_fma_f64 v[62:63], v[86:87], s[2:3], v[82:83]
	v_add_f64 v[82:83], v[0:1], v[4:5]
	v_add_f64 v[86:87], v[2:3], v[6:7]
	v_fma_f64 v[56:57], v[64:65], s[2:3], v[60:61]
	v_fma_f64 v[60:61], v[64:65], s[4:5], v[60:61]
	;; [unrolled: 1-line block ×4, first 2 shown]
	v_add_f64 v[70:71], v[14:15], v[70:71]
	v_add_f64 v[90:91], v[8:9], v[0:1]
	v_fma_f64 v[8:9], v[82:83], -0.5, v[8:9]
	v_add_f64 v[82:83], v[2:3], -v[6:7]
	v_add_f64 v[2:3], v[10:11], v[2:3]
	v_fma_f64 v[10:11], v[86:87], -0.5, v[10:11]
	v_add_f64 v[86:87], v[0:1], -v[4:5]
	;; [unrolled: 3-line block ×3, first 2 shown]
	v_add_f64 v[14:15], v[70:71], v[100:101]
	v_add_f64 v[0:1], v[90:91], v[4:5]
	v_fma_f64 v[4:5], v[82:83], s[2:3], v[8:9]
	v_fma_f64 v[8:9], v[82:83], s[4:5], v[8:9]
	v_add_f64 v[2:3], v[2:3], v[6:7]
	v_fma_f64 v[6:7], v[86:87], s[4:5], v[10:11]
	v_fma_f64 v[10:11], v[86:87], s[2:3], v[10:11]
	;; [unrolled: 1-line block ×4, first 2 shown]
	s_movk_i32 s2, 0x45
	ds_write_b128 v116, v[28:31]
	ds_write_b128 v116, v[32:35] offset:2560
	ds_write_b128 v116, v[36:39] offset:5120
	v_mov_b32_e32 v28, 0x1e00
	v_cmp_lt_u32_e64 s[2:3], s2, v72
	v_cndmask_b32_e64 v28, 0, v28, s[2:3]
	v_lshlrev_b32_e32 v29, 4, v119
	v_add3_u32 v28, 0, v28, v29
	ds_write_b128 v28, v[24:27]
	ds_write_b128 v28, v[40:43] offset:2560
	ds_write_b128 v28, v[44:47] offset:5120
	;; [unrolled: 1-line block ×5, first 2 shown]
	v_mul_u32_u24_e32 v20, 0x1e00, v120
	v_lshlrev_b32_e32 v21, 4, v121
	v_add3_u32 v20, 0, v20, v21
	ds_write_b128 v20, v[16:19]
	ds_write_b128 v20, v[56:59] offset:2560
	ds_write_b128 v20, v[60:63] offset:5120
	v_lshl_add_u32 v16, v122, 4, 0
	ds_write_b128 v16, v[12:15] offset:15360
	ds_write_b128 v16, v[64:67] offset:17920
	ds_write_b128 v16, v[68:71] offset:20480
	s_and_saveexec_b64 s[2:3], vcc
	s_cbranch_execz .LBB0_23
; %bb.22:
	v_lshl_add_u32 v12, v81, 4, 0
	ds_write_b128 v12, v[0:3] offset:15360
	ds_write_b128 v12, v[4:7] offset:17920
	;; [unrolled: 1-line block ×3, first 2 shown]
.LBB0_23:
	s_or_b64 exec, exec, s[2:3]
	s_waitcnt lgkmcnt(0)
	s_barrier
	ds_read_b128 v[28:31], v116
	ds_read_b128 v[24:27], v116 offset:1440
	ds_read_b128 v[60:63], v116 offset:15360
	;; [unrolled: 1-line block ×14, first 2 shown]
	s_and_saveexec_b64 s[2:3], vcc
	s_cbranch_execz .LBB0_25
; %bb.24:
	ds_read_b128 v[0:3], v116 offset:7200
	ds_read_b128 v[4:7], v116 offset:14880
	;; [unrolled: 1-line block ×3, first 2 shown]
.LBB0_25:
	s_or_b64 exec, exec, s[2:3]
	s_movk_i32 s4, 0x1d60
	v_add_co_u32_e64 v89, s[2:3], s4, v76
	v_addc_co_u32_e64 v90, s[2:3], 0, v77, s[2:3]
	s_movk_i32 s10, 0x1000
	v_add_co_u32_e64 v76, s[2:3], s10, v76
	v_addc_co_u32_e64 v77, s[2:3], 0, v77, s[2:3]
	global_load_dwordx4 v[81:84], v[76:77], off offset:3424
	global_load_dwordx4 v[85:88], v[89:90], off offset:16
	v_lshlrev_b32_e32 v76, 1, v80
	v_mov_b32_e32 v77, 0
	v_lshlrev_b64 v[89:90], 4, v[76:77]
	v_mov_b32_e32 v115, s9
	v_add_co_u32_e64 v76, s[2:3], s8, v89
	v_addc_co_u32_e64 v80, s[2:3], v115, v90, s[2:3]
	v_add_co_u32_e64 v97, s[2:3], s4, v76
	v_addc_co_u32_e64 v98, s[2:3], 0, v80, s[2:3]
	v_add_co_u32_e64 v99, s[2:3], s10, v76
	v_mov_b32_e32 v76, 0x168
	v_addc_co_u32_e64 v100, s[2:3], 0, v80, s[2:3]
	v_lshl_add_u32 v76, v72, 1, v76
	global_load_dwordx4 v[89:92], v[99:100], off offset:3424
	global_load_dwordx4 v[93:96], v[97:98], off offset:16
	v_lshlrev_b64 v[97:98], 4, v[76:77]
	v_add_co_u32_e64 v76, s[2:3], s8, v97
	v_addc_co_u32_e64 v80, s[2:3], v115, v98, s[2:3]
	v_add_co_u32_e64 v105, s[2:3], s4, v76
	v_addc_co_u32_e64 v106, s[2:3], 0, v80, s[2:3]
	v_add_co_u32_e64 v107, s[2:3], s10, v76
	v_lshlrev_b32_e32 v76, 1, v79
	v_addc_co_u32_e64 v108, s[2:3], 0, v80, s[2:3]
	v_lshlrev_b64 v[79:80], 4, v[76:77]
	global_load_dwordx4 v[97:100], v[107:108], off offset:3424
	global_load_dwordx4 v[101:104], v[105:106], off offset:16
	v_add_co_u32_e64 v76, s[2:3], s8, v79
	v_addc_co_u32_e64 v105, s[2:3], v115, v80, s[2:3]
	v_add_co_u32_e64 v79, s[2:3], s4, v76
	v_addc_co_u32_e64 v80, s[2:3], 0, v105, s[2:3]
	v_add_co_u32_e64 v113, s[2:3], s10, v76
	v_addc_co_u32_e64 v114, s[2:3], 0, v105, s[2:3]
	v_lshlrev_b32_e32 v76, 1, v78
	global_load_dwordx4 v[105:108], v[113:114], off offset:3424
	global_load_dwordx4 v[109:112], v[79:80], off offset:16
	v_lshlrev_b64 v[78:79], 4, v[76:77]
	v_add_co_u32_e64 v76, s[2:3], s8, v78
	v_addc_co_u32_e64 v80, s[2:3], v115, v79, s[2:3]
	v_add_co_u32_e64 v78, s[2:3], s10, v76
	v_addc_co_u32_e64 v79, s[2:3], 0, v80, s[2:3]
	global_load_dwordx4 v[117:120], v[78:79], off offset:3424
	v_add_co_u32_e64 v78, s[2:3], s4, v76
	v_addc_co_u32_e64 v79, s[2:3], 0, v80, s[2:3]
	global_load_dwordx4 v[121:124], v[78:79], off offset:16
	s_mov_b32 s2, 0xe8584caa
	s_mov_b32 s3, 0x3febb67a
	;; [unrolled: 1-line block ×3, first 2 shown]
	s_waitcnt vmcnt(0) lgkmcnt(0)
	s_barrier
	v_mul_f64 v[78:79], v[70:71], v[83:84]
	v_mul_f64 v[83:84], v[68:69], v[83:84]
	;; [unrolled: 1-line block ×4, first 2 shown]
	v_fma_f64 v[68:69], v[68:69], v[81:82], -v[78:79]
	v_fma_f64 v[70:71], v[70:71], v[81:82], v[83:84]
	v_fma_f64 v[60:61], v[60:61], v[85:86], -v[113:114]
	v_fma_f64 v[62:63], v[62:63], v[85:86], v[87:88]
	v_mul_f64 v[125:126], v[66:67], v[91:92]
	v_mul_f64 v[78:79], v[46:47], v[95:96]
	;; [unrolled: 1-line block ×4, first 2 shown]
	v_fma_f64 v[64:65], v[64:65], v[89:90], -v[125:126]
	v_fma_f64 v[44:45], v[44:45], v[93:94], -v[78:79]
	v_fma_f64 v[46:47], v[46:47], v[93:94], v[80:81]
	v_fma_f64 v[66:67], v[66:67], v[89:90], v[91:92]
	v_mul_f64 v[82:83], v[50:51], v[99:100]
	v_mul_f64 v[95:96], v[48:49], v[99:100]
	;; [unrolled: 1-line block ×4, first 2 shown]
	v_fma_f64 v[48:49], v[48:49], v[97:98], -v[82:83]
	v_fma_f64 v[50:51], v[50:51], v[97:98], v[95:96]
	v_fma_f64 v[52:53], v[52:53], v[101:102], -v[78:79]
	v_fma_f64 v[54:55], v[54:55], v[101:102], v[84:85]
	v_add_f64 v[84:85], v[68:69], v[60:61]
	v_mul_f64 v[86:87], v[58:59], v[107:108]
	v_mul_f64 v[80:81], v[56:57], v[107:108]
	;; [unrolled: 1-line block ×3, first 2 shown]
	v_fma_f64 v[78:79], v[56:57], v[105:106], -v[86:87]
	v_mul_f64 v[56:57], v[40:41], v[111:112]
	v_fma_f64 v[58:59], v[58:59], v[105:106], v[80:81]
	v_fma_f64 v[82:83], v[40:41], v[109:110], -v[82:83]
	v_mul_f64 v[80:81], v[38:39], v[119:120]
	v_mul_f64 v[40:41], v[36:37], v[119:120]
	;; [unrolled: 1-line block ×4, first 2 shown]
	v_fma_f64 v[90:91], v[42:43], v[109:110], v[56:57]
	v_add_f64 v[42:43], v[28:29], v[68:69]
	v_fma_f64 v[80:81], v[36:37], v[117:118], -v[80:81]
	v_fma_f64 v[36:37], v[84:85], -0.5, v[28:29]
	v_add_f64 v[56:57], v[70:71], -v[62:63]
	v_fma_f64 v[84:85], v[38:39], v[117:118], v[40:41]
	v_fma_f64 v[88:89], v[34:35], v[121:122], v[88:89]
	v_add_f64 v[34:35], v[70:71], v[62:63]
	v_add_f64 v[38:39], v[30:31], v[70:71]
	;; [unrolled: 1-line block ×3, first 2 shown]
	v_fma_f64 v[86:87], v[32:33], v[121:122], -v[86:87]
	v_add_f64 v[28:29], v[42:43], v[60:61]
	v_fma_f64 v[32:33], v[56:57], s[2:3], v[36:37]
	v_add_f64 v[60:61], v[68:69], -v[60:61]
	v_fma_f64 v[36:37], v[56:57], s[4:5], v[36:37]
	v_fma_f64 v[42:43], v[34:35], -0.5, v[30:31]
	v_add_f64 v[56:57], v[24:25], v[64:65]
	v_add_f64 v[30:31], v[38:39], v[62:63]
	;; [unrolled: 1-line block ×3, first 2 shown]
	v_fma_f64 v[68:69], v[40:41], -0.5, v[24:25]
	v_add_f64 v[70:71], v[66:67], -v[46:47]
	v_add_f64 v[66:67], v[26:27], v[66:67]
	v_fma_f64 v[34:35], v[60:61], s[4:5], v[42:43]
	v_fma_f64 v[38:39], v[60:61], s[2:3], v[42:43]
	v_add_f64 v[24:25], v[56:57], v[44:45]
	v_add_f64 v[42:43], v[48:49], v[52:53]
	v_fma_f64 v[56:57], v[62:63], -0.5, v[26:27]
	v_add_f64 v[60:61], v[64:65], -v[44:45]
	v_fma_f64 v[40:41], v[70:71], s[2:3], v[68:69]
	v_fma_f64 v[44:45], v[70:71], s[4:5], v[68:69]
	v_add_f64 v[62:63], v[50:51], v[54:55]
	v_add_f64 v[64:65], v[20:21], v[48:49]
	;; [unrolled: 1-line block ×4, first 2 shown]
	v_fma_f64 v[66:67], v[42:43], -0.5, v[20:21]
	v_add_f64 v[68:69], v[50:51], -v[54:55]
	v_fma_f64 v[42:43], v[60:61], s[4:5], v[56:57]
	v_fma_f64 v[46:47], v[60:61], s[2:3], v[56:57]
	v_add_f64 v[50:51], v[22:23], v[50:51]
	v_fma_f64 v[56:57], v[62:63], -0.5, v[22:23]
	v_add_f64 v[60:61], v[48:49], -v[52:53]
	v_add_f64 v[20:21], v[64:65], v[52:53]
	v_add_f64 v[62:63], v[16:17], v[78:79]
	v_fma_f64 v[64:65], v[70:71], -0.5, v[16:17]
	v_add_f64 v[70:71], v[58:59], -v[90:91]
	v_fma_f64 v[48:49], v[68:69], s[2:3], v[66:67]
	v_fma_f64 v[52:53], v[68:69], s[4:5], v[66:67]
	v_add_f64 v[22:23], v[50:51], v[54:55]
	v_fma_f64 v[50:51], v[60:61], s[4:5], v[56:57]
	v_add_f64 v[66:67], v[58:59], v[90:91]
	;; [unrolled: 2-line block ×3, first 2 shown]
	v_add_f64 v[62:63], v[80:81], v[86:87]
	v_fma_f64 v[56:57], v[70:71], s[2:3], v[64:65]
	v_fma_f64 v[60:61], v[70:71], s[4:5], v[64:65]
	v_add_f64 v[64:65], v[84:85], v[88:89]
	v_add_f64 v[58:59], v[18:19], v[58:59]
	v_fma_f64 v[66:67], v[66:67], -0.5, v[18:19]
	v_add_f64 v[68:69], v[78:79], -v[82:83]
	v_add_f64 v[70:71], v[12:13], v[80:81]
	v_fma_f64 v[78:79], v[62:63], -0.5, v[12:13]
	v_add_f64 v[82:83], v[84:85], -v[88:89]
	;; [unrolled: 3-line block ×3, first 2 shown]
	v_add_f64 v[18:19], v[58:59], v[90:91]
	v_fma_f64 v[58:59], v[68:69], s[4:5], v[66:67]
	v_fma_f64 v[62:63], v[68:69], s[2:3], v[66:67]
	v_add_f64 v[12:13], v[70:71], v[86:87]
	v_fma_f64 v[64:65], v[82:83], s[2:3], v[78:79]
	v_fma_f64 v[68:69], v[82:83], s[4:5], v[78:79]
	;; [unrolled: 3-line block ×3, first 2 shown]
	ds_write_b128 v116, v[28:31]
	ds_write_b128 v116, v[32:35] offset:7680
	ds_write_b128 v116, v[36:39] offset:15360
	;; [unrolled: 1-line block ×14, first 2 shown]
	s_and_saveexec_b64 s[6:7], vcc
	s_cbranch_execz .LBB0_27
; %bb.26:
	v_subrev_u32_e32 v12, 30, v72
	v_cndmask_b32_e32 v12, v12, v73, vcc
	v_lshlrev_b32_e32 v76, 1, v12
	v_lshlrev_b64 v[12:13], 4, v[76:77]
	v_mov_b32_e32 v14, s9
	v_add_co_u32_e32 v12, vcc, s8, v12
	v_addc_co_u32_e32 v13, vcc, v14, v13, vcc
	v_add_co_u32_e32 v20, vcc, 0x1d60, v12
	v_addc_co_u32_e32 v21, vcc, 0, v13, vcc
	;; [unrolled: 2-line block ×3, first 2 shown]
	global_load_dwordx4 v[12:15], v[22:23], off offset:3424
	global_load_dwordx4 v[16:19], v[20:21], off offset:16
	s_waitcnt vmcnt(1)
	v_mul_f64 v[20:21], v[4:5], v[14:15]
	s_waitcnt vmcnt(0)
	v_mul_f64 v[22:23], v[8:9], v[18:19]
	v_mul_f64 v[14:15], v[6:7], v[14:15]
	;; [unrolled: 1-line block ×3, first 2 shown]
	v_fma_f64 v[6:7], v[6:7], v[12:13], v[20:21]
	v_fma_f64 v[10:11], v[10:11], v[16:17], v[22:23]
	v_fma_f64 v[4:5], v[4:5], v[12:13], -v[14:15]
	v_fma_f64 v[8:9], v[8:9], v[16:17], -v[18:19]
	v_add_f64 v[18:19], v[2:3], v[6:7]
	v_add_f64 v[12:13], v[6:7], v[10:11]
	v_add_f64 v[20:21], v[6:7], -v[10:11]
	v_add_f64 v[14:15], v[4:5], v[8:9]
	v_add_f64 v[16:17], v[4:5], -v[8:9]
	v_add_f64 v[4:5], v[0:1], v[4:5]
	v_fma_f64 v[12:13], v[12:13], -0.5, v[2:3]
	v_add_f64 v[2:3], v[18:19], v[10:11]
	v_fma_f64 v[14:15], v[14:15], -0.5, v[0:1]
	v_add_f64 v[0:1], v[4:5], v[8:9]
	v_fma_f64 v[10:11], v[16:17], s[4:5], v[12:13]
	v_fma_f64 v[6:7], v[16:17], s[2:3], v[12:13]
	;; [unrolled: 1-line block ×4, first 2 shown]
	ds_write_b128 v116, v[0:3] offset:7200
	ds_write_b128 v116, v[8:11] offset:14880
	;; [unrolled: 1-line block ×3, first 2 shown]
.LBB0_27:
	s_or_b64 exec, exec, s[6:7]
	s_waitcnt lgkmcnt(0)
	s_barrier
	s_and_saveexec_b64 s[2:3], s[0:1]
	s_cbranch_execz .LBB0_29
; %bb.28:
	v_lshl_add_u32 v10, v72, 4, 0
	v_mov_b32_e32 v73, 0
	ds_read_b128 v[0:3], v10
	v_mov_b32_e32 v4, s13
	v_add_co_u32_e32 v11, vcc, s12, v74
	v_addc_co_u32_e32 v12, vcc, v4, v75, vcc
	v_lshlrev_b64 v[4:5], 4, v[72:73]
	v_add_co_u32_e32 v8, vcc, v11, v4
	v_addc_co_u32_e32 v9, vcc, v12, v5, vcc
	ds_read_b128 v[4:7], v10 offset:1440
	s_waitcnt lgkmcnt(1)
	global_store_dwordx4 v[8:9], v[0:3], off
	s_nop 0
	v_add_u32_e32 v0, 0x5a, v72
	v_mov_b32_e32 v1, v73
	v_lshlrev_b64 v[0:1], 4, v[0:1]
	v_add_co_u32_e32 v0, vcc, v11, v0
	v_addc_co_u32_e32 v1, vcc, v12, v1, vcc
	s_waitcnt lgkmcnt(0)
	global_store_dwordx4 v[0:1], v[4:7], off
	ds_read_b128 v[0:3], v10 offset:2880
	v_add_u32_e32 v4, 0xb4, v72
	v_mov_b32_e32 v5, v73
	v_lshlrev_b64 v[4:5], 4, v[4:5]
	v_add_co_u32_e32 v8, vcc, v11, v4
	v_addc_co_u32_e32 v9, vcc, v12, v5, vcc
	ds_read_b128 v[4:7], v10 offset:4320
	s_waitcnt lgkmcnt(1)
	global_store_dwordx4 v[8:9], v[0:3], off
	s_nop 0
	v_add_u32_e32 v0, 0x10e, v72
	v_mov_b32_e32 v1, v73
	v_lshlrev_b64 v[0:1], 4, v[0:1]
	v_add_co_u32_e32 v0, vcc, v11, v0
	v_addc_co_u32_e32 v1, vcc, v12, v1, vcc
	s_waitcnt lgkmcnt(0)
	global_store_dwordx4 v[0:1], v[4:7], off
	ds_read_b128 v[0:3], v10 offset:5760
	v_add_u32_e32 v4, 0x168, v72
	v_mov_b32_e32 v5, v73
	;; [unrolled: 17-line block ×7, first 2 shown]
	v_lshlrev_b64 v[4:5], 4, v[4:5]
	v_add_u32_e32 v72, 0x546, v72
	v_add_co_u32_e32 v8, vcc, v11, v4
	v_addc_co_u32_e32 v9, vcc, v12, v5, vcc
	ds_read_b128 v[4:7], v10 offset:21600
	s_waitcnt lgkmcnt(1)
	global_store_dwordx4 v[8:9], v[0:3], off
	s_nop 0
	v_lshlrev_b64 v[0:1], 4, v[72:73]
	v_add_co_u32_e32 v0, vcc, v11, v0
	v_addc_co_u32_e32 v1, vcc, v12, v1, vcc
	s_waitcnt lgkmcnt(0)
	global_store_dwordx4 v[0:1], v[4:7], off
.LBB0_29:
	s_endpgm
	.section	.rodata,"a",@progbits
	.p2align	6, 0x0
	.amdhsa_kernel fft_rtc_fwd_len1440_factors_10_16_3_3_wgs_90_tpt_90_halfLds_dp_ip_CI_unitstride_sbrr_C2R_dirReg
		.amdhsa_group_segment_fixed_size 0
		.amdhsa_private_segment_fixed_size 0
		.amdhsa_kernarg_size 88
		.amdhsa_user_sgpr_count 6
		.amdhsa_user_sgpr_private_segment_buffer 1
		.amdhsa_user_sgpr_dispatch_ptr 0
		.amdhsa_user_sgpr_queue_ptr 0
		.amdhsa_user_sgpr_kernarg_segment_ptr 1
		.amdhsa_user_sgpr_dispatch_id 0
		.amdhsa_user_sgpr_flat_scratch_init 0
		.amdhsa_user_sgpr_private_segment_size 0
		.amdhsa_uses_dynamic_stack 0
		.amdhsa_system_sgpr_private_segment_wavefront_offset 0
		.amdhsa_system_sgpr_workgroup_id_x 1
		.amdhsa_system_sgpr_workgroup_id_y 0
		.amdhsa_system_sgpr_workgroup_id_z 0
		.amdhsa_system_sgpr_workgroup_info 0
		.amdhsa_system_vgpr_workitem_id 0
		.amdhsa_next_free_vgpr 139
		.amdhsa_next_free_sgpr 22
		.amdhsa_reserve_vcc 1
		.amdhsa_reserve_flat_scratch 0
		.amdhsa_float_round_mode_32 0
		.amdhsa_float_round_mode_16_64 0
		.amdhsa_float_denorm_mode_32 3
		.amdhsa_float_denorm_mode_16_64 3
		.amdhsa_dx10_clamp 1
		.amdhsa_ieee_mode 1
		.amdhsa_fp16_overflow 0
		.amdhsa_exception_fp_ieee_invalid_op 0
		.amdhsa_exception_fp_denorm_src 0
		.amdhsa_exception_fp_ieee_div_zero 0
		.amdhsa_exception_fp_ieee_overflow 0
		.amdhsa_exception_fp_ieee_underflow 0
		.amdhsa_exception_fp_ieee_inexact 0
		.amdhsa_exception_int_div_zero 0
	.end_amdhsa_kernel
	.text
.Lfunc_end0:
	.size	fft_rtc_fwd_len1440_factors_10_16_3_3_wgs_90_tpt_90_halfLds_dp_ip_CI_unitstride_sbrr_C2R_dirReg, .Lfunc_end0-fft_rtc_fwd_len1440_factors_10_16_3_3_wgs_90_tpt_90_halfLds_dp_ip_CI_unitstride_sbrr_C2R_dirReg
                                        ; -- End function
	.section	.AMDGPU.csdata,"",@progbits
; Kernel info:
; codeLenInByte = 12836
; NumSgprs: 26
; NumVgprs: 139
; ScratchSize: 0
; MemoryBound: 0
; FloatMode: 240
; IeeeMode: 1
; LDSByteSize: 0 bytes/workgroup (compile time only)
; SGPRBlocks: 3
; VGPRBlocks: 34
; NumSGPRsForWavesPerEU: 26
; NumVGPRsForWavesPerEU: 139
; Occupancy: 1
; WaveLimiterHint : 1
; COMPUTE_PGM_RSRC2:SCRATCH_EN: 0
; COMPUTE_PGM_RSRC2:USER_SGPR: 6
; COMPUTE_PGM_RSRC2:TRAP_HANDLER: 0
; COMPUTE_PGM_RSRC2:TGID_X_EN: 1
; COMPUTE_PGM_RSRC2:TGID_Y_EN: 0
; COMPUTE_PGM_RSRC2:TGID_Z_EN: 0
; COMPUTE_PGM_RSRC2:TIDIG_COMP_CNT: 0
	.type	__hip_cuid_8c8be06b8809c669,@object ; @__hip_cuid_8c8be06b8809c669
	.section	.bss,"aw",@nobits
	.globl	__hip_cuid_8c8be06b8809c669
__hip_cuid_8c8be06b8809c669:
	.byte	0                               ; 0x0
	.size	__hip_cuid_8c8be06b8809c669, 1

	.ident	"AMD clang version 19.0.0git (https://github.com/RadeonOpenCompute/llvm-project roc-6.4.0 25133 c7fe45cf4b819c5991fe208aaa96edf142730f1d)"
	.section	".note.GNU-stack","",@progbits
	.addrsig
	.addrsig_sym __hip_cuid_8c8be06b8809c669
	.amdgpu_metadata
---
amdhsa.kernels:
  - .args:
      - .actual_access:  read_only
        .address_space:  global
        .offset:         0
        .size:           8
        .value_kind:     global_buffer
      - .offset:         8
        .size:           8
        .value_kind:     by_value
      - .actual_access:  read_only
        .address_space:  global
        .offset:         16
        .size:           8
        .value_kind:     global_buffer
      - .actual_access:  read_only
        .address_space:  global
        .offset:         24
        .size:           8
        .value_kind:     global_buffer
      - .offset:         32
        .size:           8
        .value_kind:     by_value
      - .actual_access:  read_only
        .address_space:  global
        .offset:         40
        .size:           8
        .value_kind:     global_buffer
      - .actual_access:  read_only
        .address_space:  global
        .offset:         48
        .size:           8
        .value_kind:     global_buffer
      - .offset:         56
        .size:           4
        .value_kind:     by_value
      - .actual_access:  read_only
        .address_space:  global
        .offset:         64
        .size:           8
        .value_kind:     global_buffer
      - .actual_access:  read_only
        .address_space:  global
        .offset:         72
        .size:           8
        .value_kind:     global_buffer
      - .address_space:  global
        .offset:         80
        .size:           8
        .value_kind:     global_buffer
    .group_segment_fixed_size: 0
    .kernarg_segment_align: 8
    .kernarg_segment_size: 88
    .language:       OpenCL C
    .language_version:
      - 2
      - 0
    .max_flat_workgroup_size: 90
    .name:           fft_rtc_fwd_len1440_factors_10_16_3_3_wgs_90_tpt_90_halfLds_dp_ip_CI_unitstride_sbrr_C2R_dirReg
    .private_segment_fixed_size: 0
    .sgpr_count:     26
    .sgpr_spill_count: 0
    .symbol:         fft_rtc_fwd_len1440_factors_10_16_3_3_wgs_90_tpt_90_halfLds_dp_ip_CI_unitstride_sbrr_C2R_dirReg.kd
    .uniform_work_group_size: 1
    .uses_dynamic_stack: false
    .vgpr_count:     139
    .vgpr_spill_count: 0
    .wavefront_size: 64
amdhsa.target:   amdgcn-amd-amdhsa--gfx906
amdhsa.version:
  - 1
  - 2
...

	.end_amdgpu_metadata
